;; amdgpu-corpus repo=ROCm/rocFFT kind=compiled arch=gfx1201 opt=O3
	.text
	.amdgcn_target "amdgcn-amd-amdhsa--gfx1201"
	.amdhsa_code_object_version 6
	.protected	bluestein_single_back_len924_dim1_half_op_CI_CI ; -- Begin function bluestein_single_back_len924_dim1_half_op_CI_CI
	.globl	bluestein_single_back_len924_dim1_half_op_CI_CI
	.p2align	8
	.type	bluestein_single_back_len924_dim1_half_op_CI_CI,@function
bluestein_single_back_len924_dim1_half_op_CI_CI: ; @bluestein_single_back_len924_dim1_half_op_CI_CI
; %bb.0:
	s_load_b128 s[8:11], s[0:1], 0x28
	v_mul_u32_u24_e32 v1, 0x5d2, v0
	s_mov_b32 s2, exec_lo
	v_mov_b32_e32 v31, 0
	s_delay_alu instid0(VALU_DEP_2) | instskip(NEXT) | instid1(VALU_DEP_1)
	v_lshrrev_b32_e32 v1, 16, v1
	v_add_nc_u32_e32 v30, ttmp9, v1
	s_wait_kmcnt 0x0
	s_delay_alu instid0(VALU_DEP_1)
	v_cmpx_gt_u64_e64 s[8:9], v[30:31]
	s_cbranch_execz .LBB0_31
; %bb.1:
	s_clause 0x1
	s_load_b128 s[4:7], s[0:1], 0x18
	s_load_b64 s[16:17], s[0:1], 0x0
	v_mul_lo_u16 v1, v1, 44
	s_movk_i32 s2, 0xfe5e
	s_mov_b32 s3, -1
	s_delay_alu instid0(VALU_DEP_1)
	v_sub_nc_u16 v2, v0, v1
	s_wait_kmcnt 0x0
	s_load_b128 s[12:15], s[4:5], 0x0
	s_wait_kmcnt 0x0
	v_mad_co_u64_u32 v[0:1], null, s14, v30, 0
	s_mul_u64 s[4:5], s[12:13], 0x1ce
	s_mul_u64 s[2:3], s[12:13], s[2:3]
	s_delay_alu instid0(SALU_CYCLE_1) | instskip(NEXT) | instid1(VALU_DEP_1)
	s_lshl_b64 s[2:3], s[2:3], 2
	v_mad_co_u64_u32 v[5:6], null, s15, v30, v[1:2]
	s_delay_alu instid0(VALU_DEP_1) | instskip(NEXT) | instid1(VALU_DEP_1)
	v_dual_mov_b32 v1, v5 :: v_dual_and_b32 v96, 0xffff, v2
	v_mad_co_u64_u32 v[3:4], null, s12, v96, 0
	s_delay_alu instid0(VALU_DEP_2) | instskip(NEXT) | instid1(VALU_DEP_2)
	v_lshlrev_b64_e32 v[0:1], 2, v[0:1]
	v_mad_co_u64_u32 v[6:7], null, s13, v96, v[4:5]
	v_lshlrev_b32_e32 v63, 2, v96
	s_delay_alu instid0(VALU_DEP_3) | instskip(NEXT) | instid1(VALU_DEP_4)
	v_add_co_u32 v0, vcc_lo, s10, v0
	v_add_co_ci_u32_e32 v1, vcc_lo, s11, v1, vcc_lo
	s_lshl_b64 s[12:13], s[4:5], 2
	s_delay_alu instid0(VALU_DEP_4)
	v_mov_b32_e32 v4, v6
	s_clause 0x13
	global_load_b32 v94, v63, s[16:17] offset:2024
	global_load_b32 v90, v63, s[16:17] offset:2200
	;; [unrolled: 1-line block ×5, first 2 shown]
	global_load_b32 v100, v63, s[16:17]
	global_load_b32 v99, v63, s[16:17] offset:176
	global_load_b32 v93, v63, s[16:17] offset:352
	;; [unrolled: 1-line block ×14, first 2 shown]
	v_lshlrev_b64_e32 v[3:4], 2, v[3:4]
	v_add_nc_u32_e32 v25, 0x600, v63
	s_delay_alu instid0(VALU_DEP_2) | instskip(SKIP_1) | instid1(VALU_DEP_3)
	v_add_co_u32 v0, vcc_lo, v0, v3
	s_wait_alu 0xfffd
	v_add_co_ci_u32_e32 v1, vcc_lo, v1, v4, vcc_lo
	s_wait_alu 0xfffe
	s_delay_alu instid0(VALU_DEP_2) | instskip(SKIP_1) | instid1(VALU_DEP_2)
	v_add_co_u32 v3, vcc_lo, v0, s12
	s_wait_alu 0xfffd
	v_add_co_ci_u32_e32 v4, vcc_lo, s13, v1, vcc_lo
	s_clause 0x1
	global_load_b32 v7, v[0:1], off
	global_load_b32 v8, v[3:4], off
	v_add_co_u32 v0, vcc_lo, v3, s2
	s_wait_alu 0xfffd
	v_add_co_ci_u32_e32 v1, vcc_lo, s3, v4, vcc_lo
	s_delay_alu instid0(VALU_DEP_2) | instskip(SKIP_1) | instid1(VALU_DEP_2)
	v_add_co_u32 v3, vcc_lo, v0, s12
	s_wait_alu 0xfffd
	v_add_co_ci_u32_e32 v4, vcc_lo, s13, v1, vcc_lo
	s_clause 0x1
	global_load_b32 v9, v[0:1], off
	global_load_b32 v10, v[3:4], off
	v_add_co_u32 v0, vcc_lo, v3, s2
	s_wait_alu 0xfffd
	v_add_co_ci_u32_e32 v1, vcc_lo, s3, v4, vcc_lo
	s_delay_alu instid0(VALU_DEP_2) | instskip(SKIP_1) | instid1(VALU_DEP_2)
	v_add_co_u32 v3, vcc_lo, v0, s12
	s_wait_alu 0xfffd
	v_add_co_ci_u32_e32 v4, vcc_lo, s13, v1, vcc_lo
	global_load_b32 v11, v[0:1], off
	global_load_b32 v12, v[3:4], off
	v_add_co_u32 v0, vcc_lo, v3, s2
	s_wait_alu 0xfffd
	v_add_co_ci_u32_e32 v1, vcc_lo, s3, v4, vcc_lo
	s_delay_alu instid0(VALU_DEP_2) | instskip(SKIP_1) | instid1(VALU_DEP_2)
	v_add_co_u32 v3, vcc_lo, v0, s12
	s_wait_alu 0xfffd
	v_add_co_ci_u32_e32 v4, vcc_lo, s13, v1, vcc_lo
	global_load_b32 v13, v[0:1], off
	v_add_co_u32 v0, vcc_lo, v3, s2
	s_wait_alu 0xfffd
	v_add_co_ci_u32_e32 v1, vcc_lo, s3, v4, vcc_lo
	global_load_b32 v14, v[3:4], off
	global_load_b32 v15, v[0:1], off
	v_add_co_u32 v0, vcc_lo, v0, s12
	s_wait_alu 0xfffd
	v_add_co_ci_u32_e32 v1, vcc_lo, s13, v1, vcc_lo
	s_delay_alu instid0(VALU_DEP_2) | instskip(SKIP_1) | instid1(VALU_DEP_2)
	v_add_co_u32 v3, vcc_lo, v0, s2
	s_wait_alu 0xfffd
	v_add_co_ci_u32_e32 v4, vcc_lo, s3, v1, vcc_lo
	global_load_b32 v16, v[0:1], off
	;; [unrolled: 13-line block ×3, first 2 shown]
	global_load_b32 v20, v[3:4], off
	v_add_co_u32 v0, vcc_lo, v3, s2
	s_wait_alu 0xfffd
	v_add_co_ci_u32_e32 v1, vcc_lo, s3, v4, vcc_lo
	s_delay_alu instid0(VALU_DEP_2) | instskip(SKIP_1) | instid1(VALU_DEP_2)
	v_add_co_u32 v3, vcc_lo, v0, s12
	s_wait_alu 0xfffd
	v_add_co_ci_u32_e32 v4, vcc_lo, s13, v1, vcc_lo
	global_load_b32 v21, v[0:1], off
	v_add_co_u32 v0, vcc_lo, v3, s2
	s_wait_alu 0xfffd
	v_add_co_ci_u32_e32 v1, vcc_lo, s3, v4, vcc_lo
	global_load_b32 v22, v[3:4], off
	;; [unrolled: 4-line block ×3, first 2 shown]
	v_add_co_u32 v5, vcc_lo, v3, s2
	s_wait_alu 0xfffd
	v_add_co_ci_u32_e32 v6, vcc_lo, s3, v4, vcc_lo
	s_delay_alu instid0(VALU_DEP_2) | instskip(SKIP_1) | instid1(VALU_DEP_2)
	v_add_co_u32 v0, vcc_lo, v5, s12
	s_wait_alu 0xfffd
	v_add_co_ci_u32_e32 v1, vcc_lo, s13, v6, vcc_lo
	global_load_b32 v24, v[3:4], off
	global_load_b32 v5, v[5:6], off
	;; [unrolled: 1-line block ×3, first 2 shown]
	s_load_b64 s[4:5], s[0:1], 0x38
	s_load_b128 s[8:11], s[6:7], 0x0
	v_add_nc_u32_e32 v4, 0x800, v63
	v_add_co_u32 v28, s6, s16, v63
	s_delay_alu instid0(VALU_DEP_1)
	v_add_co_ci_u32_e64 v29, null, s17, 0, s6
	v_add_nc_u32_e32 v3, 0x400, v63
	v_cmp_gt_u16_e32 vcc_lo, 22, v2
	s_wait_loadcnt 0x22
	v_lshrrev_b32_e32 v104, 16, v100
	s_wait_loadcnt 0x21
	v_lshrrev_b32_e32 v102, 16, v99
	v_lshrrev_b32_e32 v98, 16, v94
	s_wait_loadcnt 0x20
	v_lshrrev_b32_e32 v97, 16, v93
	;; [unrolled: 3-line block ×4, first 2 shown]
	v_lshrrev_b32_e32 v88, 16, v85
	v_lshrrev_b32_e32 v86, 16, v83
	;; [unrolled: 1-line block ×5, first 2 shown]
	s_wait_loadcnt 0x17
	v_lshrrev_b32_e32 v78, 16, v76
	v_lshrrev_b32_e32 v75, 16, v73
	s_wait_loadcnt 0x16
	v_lshrrev_b32_e32 v74, 16, v72
	v_lshrrev_b32_e32 v71, 16, v70
	;; [unrolled: 3-line block ×3, first 2 shown]
	s_wait_loadcnt 0x14
	v_lshrrev_b32_e32 v66, 16, v64
	s_wait_loadcnt 0x13
	v_lshrrev_b32_e32 v26, 16, v7
	v_mul_f16_e32 v27, v104, v7
	s_wait_loadcnt 0x12
	v_lshrrev_b32_e32 v32, 16, v8
	v_mul_f16_e32 v33, v103, v8
	v_mul_f16_e32 v31, v104, v26
	v_fma_f16 v26, v100, v26, -v27
	s_delay_alu instid0(VALU_DEP_2)
	v_fmac_f16_e32 v31, v100, v7
	v_mul_f16_e32 v7, v103, v32
	v_fma_f16 v32, v101, v32, -v33
	s_wait_loadcnt 0x11
	v_lshrrev_b32_e32 v27, 16, v9
	v_mul_f16_e32 v33, v102, v9
	v_pack_b32_f16 v26, v31, v26
	v_fmac_f16_e32 v7, v101, v8
	s_wait_loadcnt 0x10
	v_lshrrev_b32_e32 v31, 16, v10
	v_mul_f16_e32 v8, v102, v27
	v_mul_f16_e32 v34, v98, v10
	v_fma_f16 v27, v99, v27, -v33
	v_pack_b32_f16 v7, v7, v32
	s_delay_alu instid0(VALU_DEP_4)
	v_fmac_f16_e32 v8, v99, v9
	v_mul_f16_e32 v9, v98, v31
	s_wait_loadcnt 0xf
	v_lshrrev_b32_e32 v32, 16, v11
	v_fma_f16 v31, v94, v31, -v34
	v_mul_f16_e32 v33, v97, v11
	ds_store_b32 v63, v7 offset:1848
	v_pack_b32_f16 v7, v8, v27
	v_fmac_f16_e32 v9, v94, v10
	v_mul_f16_e32 v8, v97, v32
	s_wait_loadcnt 0xe
	v_lshrrev_b32_e32 v27, 16, v12
	v_fma_f16 v10, v93, v32, -v33
	v_mul_f16_e32 v32, v95, v12
	ds_store_2addr_b32 v63, v26, v7 offset1:44
	v_pack_b32_f16 v7, v9, v31
	v_fmac_f16_e32 v8, v93, v11
	v_mul_f16_e32 v9, v95, v27
	s_wait_loadcnt 0xd
	v_lshrrev_b32_e32 v11, 16, v13
	v_fma_f16 v26, v90, v27, -v32
	v_mul_f16_e32 v27, v92, v13
	v_pack_b32_f16 v8, v8, v10
	v_fmac_f16_e32 v9, v90, v12
	v_mul_f16_e32 v10, v92, v11
	s_wait_loadcnt 0xc
	v_lshrrev_b32_e32 v12, 16, v14
	v_mul_f16_e32 v31, v91, v14
	v_fma_f16 v11, v89, v11, -v27
	v_pack_b32_f16 v9, v9, v26
	v_fmac_f16_e32 v10, v89, v13
	v_mul_f16_e32 v13, v91, v12
	s_wait_loadcnt 0xb
	v_lshrrev_b32_e32 v26, 16, v15
	v_fma_f16 v12, v87, v12, -v31
	v_mul_f16_e32 v27, v88, v15
	ds_store_2addr_b32 v25, v7, v9 offset0:122 offset1:166
	v_pack_b32_f16 v7, v10, v11
	v_fmac_f16_e32 v13, v87, v14
	v_mul_f16_e32 v9, v88, v26
	s_wait_loadcnt 0xa
	v_lshrrev_b32_e32 v11, 16, v16
	v_fma_f16 v10, v85, v26, -v27
	v_mul_f16_e32 v14, v86, v16
	ds_store_2addr_b32 v63, v8, v7 offset0:88 offset1:132
	v_pack_b32_f16 v7, v13, v12
	v_fmac_f16_e32 v9, v85, v15
	v_mul_f16_e32 v8, v86, v11
	s_wait_loadcnt 0x9
	v_lshrrev_b32_e32 v12, 16, v17
	v_fma_f16 v11, v83, v11, -v14
	v_mul_f16_e32 v13, v84, v17
	v_pack_b32_f16 v9, v9, v10
	v_fmac_f16_e32 v8, v83, v16
	v_mul_f16_e32 v10, v84, v12
	s_wait_loadcnt 0x8
	v_lshrrev_b32_e32 v14, 16, v18
	v_mul_f16_e32 v15, v82, v18
	v_fma_f16 v12, v81, v12, -v13
	v_pack_b32_f16 v8, v8, v11
	v_fmac_f16_e32 v10, v81, v17
	v_mul_f16_e32 v11, v82, v14
	v_fma_f16 v13, v79, v14, -v15
	s_wait_loadcnt 0x7
	v_lshrrev_b32_e32 v14, 16, v19
	v_mul_f16_e32 v15, v80, v19
	ds_store_2addr_b32 v4, v7, v8 offset0:82 offset1:126
	v_pack_b32_f16 v7, v10, v12
	s_wait_loadcnt 0x6
	v_lshrrev_b32_e32 v12, 16, v20
	v_fmac_f16_e32 v11, v79, v18
	v_mul_f16_e32 v8, v80, v14
	v_fma_f16 v10, v77, v14, -v15
	v_mul_f16_e32 v14, v78, v20
	ds_store_2addr_b32 v63, v9, v7 offset0:176 offset1:220
	v_mul_f16_e32 v9, v78, v12
	v_pack_b32_f16 v7, v11, v13
	v_fmac_f16_e32 v8, v77, v19
	s_wait_loadcnt 0x5
	v_lshrrev_b32_e32 v11, 16, v21
	v_fma_f16 v12, v76, v12, -v14
	v_fmac_f16_e32 v9, v76, v20
	s_wait_loadcnt 0x4
	v_lshrrev_b32_e32 v14, 16, v22
	v_mul_f16_e32 v13, v75, v21
	v_pack_b32_f16 v8, v8, v10
	v_mul_f16_e32 v10, v75, v11
	v_mul_f16_e32 v15, v74, v22
	v_pack_b32_f16 v9, v9, v12
	v_mul_f16_e32 v12, v74, v14
	v_fma_f16 v11, v73, v11, -v13
	v_fmac_f16_e32 v10, v73, v21
	v_fma_f16 v13, v72, v14, -v15
	s_wait_loadcnt 0x3
	v_lshrrev_b32_e32 v14, 16, v23
	v_mul_f16_e32 v15, v71, v23
	v_fmac_f16_e32 v12, v72, v22
	ds_store_2addr_b32 v4, v7, v9 offset0:170 offset1:214
	v_pack_b32_f16 v7, v10, v11
	s_wait_loadcnt 0x2
	v_lshrrev_b32_e32 v11, 16, v24
	v_mul_f16_e32 v9, v71, v14
	v_fma_f16 v10, v70, v14, -v15
	v_mul_f16_e32 v14, v69, v24
	v_pack_b32_f16 v12, v12, v13
	s_wait_loadcnt 0x1
	v_lshrrev_b32_e32 v13, 16, v5
	s_wait_loadcnt 0x0
	v_lshrrev_b32_e32 v15, 16, v6
	v_mul_f16_e32 v16, v69, v11
	v_fma_f16 v11, v68, v11, -v14
	v_mul_f16_e32 v14, v67, v5
	v_mul_f16_e32 v17, v67, v13
	;; [unrolled: 1-line block ×4, first 2 shown]
	v_fmac_f16_e32 v9, v70, v23
	v_fmac_f16_e32 v16, v68, v24
	v_fma_f16 v13, v65, v13, -v14
	v_fmac_f16_e32 v17, v65, v5
	v_fmac_f16_e32 v18, v64, v6
	v_fma_f16 v5, v64, v15, -v19
	v_add_nc_u32_e32 v14, 0xc00, v63
	v_pack_b32_f16 v6, v9, v10
	v_pack_b32_f16 v9, v16, v11
	;; [unrolled: 1-line block ×4, first 2 shown]
	ds_store_2addr_b32 v3, v8, v7 offset0:8 offset1:52
	ds_store_2addr_b32 v14, v12, v9 offset0:2 offset1:46
	;; [unrolled: 1-line block ×3, first 2 shown]
	ds_store_b32 v63, v5 offset:3432
	s_and_saveexec_b32 s6, vcc_lo
	s_cbranch_execz .LBB0_3
; %bb.2:
	v_add_co_u32 v0, s2, v0, s2
	s_wait_alu 0xf1ff
	v_add_co_ci_u32_e64 v1, s2, s3, v1, s2
	s_delay_alu instid0(VALU_DEP_2) | instskip(SKIP_1) | instid1(VALU_DEP_2)
	v_add_co_u32 v5, s2, v0, s12
	s_wait_alu 0xf1ff
	v_add_co_ci_u32_e64 v6, s2, s13, v1, s2
	s_clause 0x1
	global_load_b32 v2, v[28:29], off offset:1760
	global_load_b32 v7, v[28:29], off offset:3608
	global_load_b32 v0, v[0:1], off
	global_load_b32 v1, v[5:6], off
	s_wait_loadcnt 0x3
	v_lshrrev_b32_e32 v5, 16, v2
	s_wait_loadcnt 0x2
	v_lshrrev_b32_e32 v6, 16, v7
	;; [unrolled: 2-line block ×4, first 2 shown]
	v_mul_f16_e32 v10, v5, v0
	s_delay_alu instid0(VALU_DEP_3) | instskip(NEXT) | instid1(VALU_DEP_3)
	v_mul_f16_e32 v5, v5, v8
	v_mul_f16_e32 v11, v6, v9
	;; [unrolled: 1-line block ×3, first 2 shown]
	s_delay_alu instid0(VALU_DEP_4) | instskip(NEXT) | instid1(VALU_DEP_4)
	v_fma_f16 v8, v2, v8, -v10
	v_fmac_f16_e32 v5, v2, v0
	s_delay_alu instid0(VALU_DEP_4) | instskip(NEXT) | instid1(VALU_DEP_4)
	v_fmac_f16_e32 v11, v7, v1
	v_fma_f16 v0, v7, v9, -v6
	s_delay_alu instid0(VALU_DEP_3) | instskip(NEXT) | instid1(VALU_DEP_2)
	v_pack_b32_f16 v1, v5, v8
	v_pack_b32_f16 v0, v11, v0
	ds_store_b32 v63, v1 offset:1760
	ds_store_b32 v63, v0 offset:3608
.LBB0_3:
	s_wait_alu 0xfffe
	s_or_b32 exec_lo, exec_lo, s6
	v_add_nc_u32_e32 v2, 0xa00, v63
	global_wb scope:SCOPE_SE
	s_wait_dscnt 0x0
	s_wait_kmcnt 0x0
	s_barrier_signal -1
	s_barrier_wait -1
	global_inv scope:SCOPE_SE
	ds_load_2addr_b32 v[10:11], v63 offset1:44
	ds_load_2addr_b32 v[0:1], v3 offset0:206 offset1:250
	ds_load_2addr_b32 v[8:9], v63 offset0:88 offset1:132
	;; [unrolled: 1-line block ×9, first 2 shown]
                                        ; implicit-def: $vgpr20
                                        ; implicit-def: $vgpr21
	s_and_saveexec_b32 s2, vcc_lo
	s_cbranch_execz .LBB0_5
; %bb.4:
	ds_load_b32 v20, v63 offset:1760
	ds_load_b32 v21, v63 offset:3608
.LBB0_5:
	s_wait_alu 0xfffe
	s_or_b32 exec_lo, exec_lo, s2
	s_load_b64 s[2:3], s[0:1], 0x8
	v_add_co_u32 v22, s0, v96, 44
	s_wait_dscnt 0x8
	v_pk_add_f16 v34, v10, v0 neg_lo:[0,1] neg_hi:[0,1]
	v_pk_add_f16 v36, v11, v1 neg_lo:[0,1] neg_hi:[0,1]
	s_wait_alu 0xf1ff
	v_add_co_ci_u32_e64 v23, null, 0, 0, s0
	v_add_co_u32 v23, s0, 0x58, v96
	v_add_co_u32 v27, null, 0x84, v96
	v_add_co_u32 v26, null, 0xb0, v96
	s_wait_dscnt 0x6
	v_pk_add_f16 v16, v8, v16 neg_lo:[0,1] neg_hi:[0,1]
	v_pk_add_f16 v37, v9, v17 neg_lo:[0,1] neg_hi:[0,1]
	s_wait_dscnt 0x4
	v_pk_add_f16 v18, v6, v18 neg_lo:[0,1] neg_hi:[0,1]
	v_lshlrev_b32_e32 v107, 3, v96
	v_pk_fma_f16 v33, v10, 2.0, v34 op_sel_hi:[1,0,1] neg_lo:[0,0,1] neg_hi:[0,0,1]
	v_lshlrev_b32_e32 v108, 3, v22
	v_pk_fma_f16 v35, v11, 2.0, v36 op_sel_hi:[1,0,1] neg_lo:[0,0,1] neg_hi:[0,0,1]
	v_lshlrev_b32_e32 v31, 1, v96
	s_wait_dscnt 0x2
	v_pk_add_f16 v12, v4, v12 neg_lo:[0,1] neg_hi:[0,1]
	s_wait_alu 0xf1ff
	v_add_co_ci_u32_e64 v24, null, 0, 0, s0
	v_add_co_u32 v25, null, 0xdc, v96
	v_add_co_u32 v24, null, 0x108, v96
	;; [unrolled: 1-line block ×3, first 2 shown]
	v_pk_add_f16 v19, v7, v19 neg_lo:[0,1] neg_hi:[0,1]
	s_wait_dscnt 0x0
	v_pk_add_f16 v1, v20, v21 neg_lo:[0,1] neg_hi:[0,1]
	v_pk_add_f16 v40, v3, v15 neg_lo:[0,1] neg_hi:[0,1]
	global_wb scope:SCOPE_SE
	s_wait_kmcnt 0x0
	s_barrier_signal -1
	s_barrier_wait -1
	global_inv scope:SCOPE_SE
	ds_store_b64 v107, v[33:34]
	ds_store_b64 v108, v[35:36]
	v_lshlrev_b32_e32 v109, 3, v23
	v_pk_fma_f16 v15, v8, 2.0, v16 op_sel_hi:[1,0,1] neg_lo:[0,0,1] neg_hi:[0,0,1]
	v_lshlrev_b32_e32 v112, 3, v27
	v_pk_fma_f16 v36, v9, 2.0, v37 op_sel_hi:[1,0,1] neg_lo:[0,0,1] neg_hi:[0,0,1]
	;; [unrolled: 2-line block ×3, first 2 shown]
	v_pk_add_f16 v21, v5, v13 neg_lo:[0,1] neg_hi:[0,1]
	v_pk_add_f16 v14, v2, v14 neg_lo:[0,1] neg_hi:[0,1]
	v_pk_fma_f16 v11, v4, 2.0, v12 op_sel_hi:[1,0,1] neg_lo:[0,0,1] neg_hi:[0,0,1]
	v_lshlrev_b32_e32 v4, 2, v31
	v_pk_fma_f16 v0, v20, 2.0, v1 op_sel_hi:[1,0,1] neg_lo:[0,0,1] neg_hi:[0,0,1]
	v_lshlrev_b32_e32 v33, 1, v22
	v_lshlrev_b32_e32 v34, 1, v23
	ds_store_b64 v109, v[15:16]
	v_lshlrev_b32_e32 v35, 1, v27
	ds_store_b64 v112, v[36:37]
	;; [unrolled: 2-line block ×3, first 2 shown]
	v_lshlrev_b32_e32 v37, 1, v25
	v_lshlrev_b32_e32 v110, 3, v25
	v_pk_fma_f16 v18, v7, 2.0, v19 op_sel_hi:[1,0,1] neg_lo:[0,0,1] neg_hi:[0,0,1]
	v_lshlrev_b32_e32 v38, 1, v24
	v_lshlrev_b32_e32 v113, 3, v24
	v_add_nc_u32_e32 v126, 0x268, v31
	v_add_nc_u32_e32 v127, 0x2c0, v31
	;; [unrolled: 1-line block ×3, first 2 shown]
	v_lshlrev_b32_e32 v115, 3, v32
	v_pk_fma_f16 v20, v5, 2.0, v21 op_sel_hi:[1,0,1] neg_lo:[0,0,1] neg_hi:[0,0,1]
	v_pk_fma_f16 v13, v2, 2.0, v14 op_sel_hi:[1,0,1] neg_lo:[0,0,1] neg_hi:[0,0,1]
	v_add_nc_u32_e32 v2, 0x800, v4
	v_pk_fma_f16 v39, v3, 2.0, v40 op_sel_hi:[1,0,1] neg_lo:[0,0,1] neg_hi:[0,0,1]
	ds_store_b64 v110, v[18:19]
	ds_store_b64 v113, v[11:12]
	ds_store_2addr_b64 v2, v[20:21], v[13:14] offset0:52 offset1:96
	ds_store_b64 v4, v[39:40] offset:3168
	s_and_saveexec_b32 s0, vcc_lo
	s_cbranch_execz .LBB0_7
; %bb.6:
	ds_store_b64 v115, v[0:1]
.LBB0_7:
	s_wait_alu 0xfffe
	s_or_b32 exec_lo, exec_lo, s0
	v_add_nc_u32_e32 v5, 0x800, v63
	v_add_nc_u32_e32 v4, 0x400, v63
	;; [unrolled: 1-line block ×4, first 2 shown]
	global_wb scope:SCOPE_SE
	s_wait_dscnt 0x0
	s_barrier_signal -1
	s_barrier_wait -1
	global_inv scope:SCOPE_SE
	ds_load_2addr_b32 v[6:7], v63 offset1:44
	ds_load_2addr_b32 v[16:17], v4 offset0:206 offset1:250
	ds_load_2addr_b32 v[2:3], v63 offset0:88 offset1:132
	ds_load_2addr_b32 v[12:13], v5 offset0:38 offset1:82
	ds_load_2addr_b32 v[8:9], v63 offset0:176 offset1:220
	ds_load_2addr_b32 v[20:21], v5 offset0:126 offset1:170
	ds_load_2addr_b32 v[10:11], v4 offset0:8 offset1:52
	ds_load_2addr_b32 v[18:19], v14 offset0:86 offset1:130
	ds_load_2addr_b32 v[4:5], v4 offset0:96 offset1:140
	ds_load_2addr_b32 v[14:15], v15 offset0:46 offset1:90
	s_and_saveexec_b32 s0, vcc_lo
	s_cbranch_execz .LBB0_9
; %bb.8:
	ds_load_b32 v0, v63 offset:1760
	ds_load_b32 v1, v63 offset:3608
.LBB0_9:
	s_wait_alu 0xfffe
	s_or_b32 exec_lo, exec_lo, s0
	v_and_b32_e32 v105, 1, v96
	s_wait_dscnt 0x8
	v_lshrrev_b32_e32 v41, 16, v16
	v_lshlrev_b32_e32 v111, 1, v32
	v_lshrrev_b32_e32 v43, 16, v17
	s_wait_dscnt 0x6
	v_lshrrev_b32_e32 v45, 16, v12
	v_lshlrev_b32_e32 v39, 2, v105
	v_and_or_b32 v31, 0x7c, v31, v105
	v_and_or_b32 v32, 0xfc, v33, v105
	;; [unrolled: 1-line block ×4, first 2 shown]
	global_load_b32 v106, v39, s[2:3]
	v_and_or_b32 v35, 0x1fc, v36, v105
	v_and_or_b32 v36, 0x3fc, v37, v105
	v_lshrrev_b32_e32 v47, 16, v13
	v_and_or_b32 v37, 0x2fc, v38, v105
	v_and_or_b32 v38, 0x2fc, v126, v105
	s_wait_dscnt 0x4
	v_lshrrev_b32_e32 v49, 16, v20
	v_and_or_b32 v61, 0x3fc, v127, v105
	v_and_or_b32 v62, 0x3fc, v128, v105
	v_lshrrev_b32_e32 v51, 16, v21
	s_wait_dscnt 0x2
	v_lshrrev_b32_e32 v52, 16, v18
	v_lshrrev_b32_e32 v55, 16, v19
	s_wait_dscnt 0x0
	v_lshrrev_b32_e32 v57, 16, v14
	v_lshrrev_b32_e32 v59, 16, v15
	;; [unrolled: 1-line block ×3, first 2 shown]
	v_lshlrev_b32_e32 v121, 2, v31
	v_lshlrev_b32_e32 v122, 2, v32
	;; [unrolled: 1-line block ×10, first 2 shown]
	v_lshrrev_b32_e32 v40, 16, v6
	v_lshrrev_b32_e32 v42, 16, v7
	;; [unrolled: 1-line block ×11, first 2 shown]
	global_wb scope:SCOPE_SE
	s_wait_loadcnt 0x0
	s_barrier_signal -1
	s_barrier_wait -1
	global_inv scope:SCOPE_SE
	v_lshrrev_b32_e32 v129, 16, v106
	s_delay_alu instid0(VALU_DEP_1)
	v_mul_f16_e64 v31, v41, v129
	v_mul_f16_e64 v32, v16, v129
	;; [unrolled: 1-line block ×21, first 2 shown]
	v_fma_f16 v16, v16, v106, -v31
	v_fmac_f16_e32 v32, v41, v106
	v_fma_f16 v17, v17, v106, -v33
	v_fmac_f16_e32 v34, v43, v106
	;; [unrolled: 2-line block ×5, first 2 shown]
	v_mul_f16_e64 v141, v1, v129
	v_fma_f16 v21, v21, v106, -v130
	v_fmac_f16_e64 v131, v51, v106
	v_fma_f16 v18, v18, v106, -v132
	v_fmac_f16_e64 v133, v52, v106
	;; [unrolled: 2-line block ×5, first 2 shown]
	v_fma_f16 v1, v1, v106, -v140
	v_sub_f16_e32 v16, v6, v16
	v_sub_f16_e32 v31, v40, v32
	;; [unrolled: 1-line block ×10, first 2 shown]
	v_fmac_f16_e64 v141, v60, v106
	v_sub_f16_e32 v21, v9, v21
	v_sub_f16_e64 v36, v50, v131
	v_sub_f16_e32 v18, v10, v18
	v_sub_f16_e64 v37, v53, v133
	;; [unrolled: 2-line block ×5, first 2 shown]
	v_sub_f16_e32 v51, v0, v1
	v_fma_f16 v1, v6, 2.0, -v16
	v_fma_f16 v6, v40, 2.0, -v31
	;; [unrolled: 1-line block ×10, first 2 shown]
	v_sub_f16_e64 v52, v39, v141
	v_fma_f16 v9, v9, 2.0, -v21
	v_fma_f16 v46, v50, 2.0, -v36
	;; [unrolled: 1-line block ×10, first 2 shown]
	v_pack_b32_f16 v16, v16, v31
	v_pack_b32_f16 v1, v1, v6
	;; [unrolled: 1-line block ×20, first 2 shown]
	ds_store_2addr_b32 v121, v1, v16 offset1:2
	ds_store_2addr_b32 v122, v6, v17 offset1:2
	;; [unrolled: 1-line block ×10, first 2 shown]
	s_and_saveexec_b32 s0, vcc_lo
	s_cbranch_execz .LBB0_11
; %bb.10:
	v_fma_f16 v0, v0, 2.0, -v51
	v_and_or_b32 v1, 0x3fc, v111, v105
	v_fma_f16 v2, v39, 2.0, -v52
	s_delay_alu instid0(VALU_DEP_2) | instskip(NEXT) | instid1(VALU_DEP_2)
	v_lshlrev_b32_e32 v1, 2, v1
	v_pack_b32_f16 v0, v0, v2
	v_perm_b32 v2, v52, v51, 0x5040100
	ds_store_2addr_b32 v1, v0, v2 offset1:2
.LBB0_11:
	s_wait_alu 0xfffe
	s_or_b32 exec_lo, exec_lo, s0
	v_and_b32_e32 v11, 3, v96
	global_wb scope:SCOPE_SE
	s_wait_dscnt 0x0
	s_barrier_signal -1
	s_barrier_wait -1
	global_inv scope:SCOPE_SE
	v_lshlrev_b32_e32 v0, 3, v11
	v_add_nc_u32_e32 v54, 0x400, v63
	v_lshrrev_b32_e32 v13, 2, v96
	v_lshrrev_b32_e32 v14, 2, v22
	;; [unrolled: 1-line block ×3, first 2 shown]
	global_load_b64 v[31:32], v0, s[2:3] offset:8
	v_lshrrev_b32_e32 v16, 2, v27
	v_lshrrev_b32_e32 v17, 2, v26
	v_lshrrev_b32_e32 v18, 2, v25
	v_lshrrev_b32_e32 v21, 2, v24
	v_and_b32_e32 v37, 0xff, v96
	v_and_b32_e32 v39, 0xff, v23
	v_add_nc_u32_e32 v53, 0x800, v63
	ds_load_2addr_b32 v[4:5], v63 offset1:44
	ds_load_2addr_b32 v[2:3], v63 offset0:88 offset1:132
	ds_load_2addr_b32 v[0:1], v63 offset0:176 offset1:220
	v_add_nc_u32_e32 v12, 0xc00, v63
	ds_load_b32 v6, v63 offset:3520
	ds_load_2addr_b32 v[7:8], v54 offset0:8 offset1:52
	ds_load_2addr_b32 v[9:10], v53 offset0:104 offset1:148
	;; [unrolled: 1-line block ×7, first 2 shown]
	v_mul_u32_u24_e32 v13, 12, v13
	v_mul_u32_u24_e32 v14, 12, v14
	;; [unrolled: 1-line block ×7, first 2 shown]
	v_mul_lo_u16 v37, 0xab, v37
	v_mul_lo_u16 v39, 0xab, v39
	v_or_b32_e32 v40, v13, v11
	v_or_b32_e32 v41, v14, v11
	;; [unrolled: 1-line block ×7, first 2 shown]
	v_lshrrev_b16 v18, 11, v37
	v_lshrrev_b16 v14, 11, v39
	v_lshlrev_b32_e32 v133, 2, v16
	s_wait_dscnt 0x5
	v_lshrrev_b32_e32 v47, 16, v9
	v_lshlrev_b32_e32 v130, 2, v11
	v_mul_lo_u16 v11, v18, 12
	v_mul_lo_u16 v16, v14, 12
	s_wait_dscnt 0x4
	v_lshrrev_b32_e32 v48, 16, v19
	v_lshrrev_b32_e32 v49, 16, v10
	v_and_b32_e32 v38, 0xff, v22
	v_sub_nc_u16 v11, v96, v11
	v_sub_nc_u16 v16, v23, v16
	v_lshrrev_b32_e32 v23, 16, v8
	v_lshrrev_b32_e32 v50, 16, v20
	s_wait_dscnt 0x3
	v_lshrrev_b32_e32 v55, 16, v24
	s_wait_dscnt 0x2
	v_lshrrev_b32_e32 v56, 16, v26
	v_lshrrev_b32_e32 v57, 16, v25
	v_lshlrev_b32_e32 v132, 2, v17
	v_lshrrev_b32_e32 v46, 16, v6
	v_lshrrev_b32_e32 v58, 16, v27
	s_wait_dscnt 0x1
	v_lshrrev_b32_e32 v59, 16, v33
	s_wait_dscnt 0x0
	v_lshrrev_b32_e32 v60, 16, v35
	v_lshrrev_b32_e32 v61, 16, v34
	;; [unrolled: 1-line block ×3, first 2 shown]
	v_and_b32_e32 v17, 0xff, v11
	v_mul_lo_u16 v38, 0xab, v38
	v_lshlrev_b32_e32 v135, 2, v41
	v_lshlrev_b32_e32 v131, 2, v42
	v_lshrrev_b32_e32 v21, 16, v4
	v_lshrrev_b32_e32 v41, 16, v5
	v_lshrrev_b16 v13, 11, v38
	v_lshrrev_b32_e32 v42, 16, v2
	v_lshrrev_b32_e32 v43, 16, v3
	;; [unrolled: 1-line block ×3, first 2 shown]
	v_lshlrev_b32_e32 v134, 2, v15
	v_mul_lo_u16 v15, v13, 12
	v_lshrrev_b32_e32 v44, 16, v0
	v_lshrrev_b32_e32 v45, 16, v1
	v_mad_co_u64_u32 v[37:38], null, v17, 24, s[2:3]
	s_delay_alu instid0(VALU_DEP_4)
	v_sub_nc_u16 v15, v22, v15
	v_lshlrev_b32_e32 v136, 2, v40
	v_and_b32_e32 v16, 0xff, v16
	global_wb scope:SCOPE_SE
	s_wait_loadcnt 0x0
	s_barrier_signal -1
	v_and_b32_e32 v15, 0xff, v15
	s_barrier_wait -1
	global_inv scope:SCOPE_SE
	v_and_b32_e32 v18, 0xffff, v18
	v_cmp_gt_u16_e64 s0, 40, v96
	v_mad_co_u64_u32 v[39:40], null, v15, 24, s[2:3]
	v_lshrrev_b32_e32 v141, 16, v31
	v_lshrrev_b32_e32 v140, 16, v32
	s_delay_alu instid0(VALU_DEP_2) | instskip(SKIP_1) | instid1(VALU_DEP_3)
	v_mul_f16_e64 v11, v23, v141
	v_mul_f16_e64 v138, v8, v141
	;; [unrolled: 1-line block ×28, first 2 shown]
	v_fma_f16 v8, v8, v31, -v11
	v_fmac_f16_e64 v138, v23, v31
	v_fma_f16 v9, v9, v32, -v139
	v_fmac_f16_e64 v142, v47, v32
	;; [unrolled: 2-line block ×14, first 2 shown]
	v_add_f16_e32 v36, v8, v9
	v_add_f16_e64 v48, v138, v142
	v_add_f16_e32 v50, v11, v10
	v_add_f16_e64 v57, v144, v146
	;; [unrolled: 2-line block ×3, first 2 shown]
	v_add_f16_e64 v139, v23, v24
	v_add_f16_e64 v145, v152, v154
	v_add_f16_e32 v35, v4, v8
	v_sub_f16_e64 v46, v138, v142
	v_add_f16_e64 v47, v21, v138
	v_sub_f16_e32 v8, v8, v9
	v_sub_f16_e64 v55, v144, v146
	v_add_f16_e64 v56, v41, v144
	v_sub_f16_e64 v60, v148, v150
	v_add_f16_e64 v61, v42, v148
	;; [unrolled: 2-line block ×3, first 2 shown]
	v_add_f16_e64 v148, v25, v26
	v_add_f16_e64 v152, v156, v158
	;; [unrolled: 1-line block ×5, first 2 shown]
	v_sub_f16_e64 v163, v164, v166
	v_add_f16_e64 v165, v62, v164
	v_add_f16_e64 v164, v164, v166
	v_fma_f16 v4, -0.5, v36, v4
	v_fmac_f16_e32 v21, -0.5, v48
	v_add_f16_e32 v49, v5, v11
	v_sub_f16_e32 v11, v11, v10
	v_fmac_f16_e32 v5, -0.5, v50
	v_fmac_f16_e32 v41, -0.5, v57
	v_add_f16_e32 v58, v2, v19
	v_sub_f16_e32 v19, v19, v20
	v_add_f16_e64 v138, v3, v23
	v_sub_f16_e32 v23, v23, v24
	v_fma_f16 v2, -0.5, v59, v2
	v_fmac_f16_e64 v42, -0.5, v137
	v_fmac_f16_e64 v3, -0.5, v139
	;; [unrolled: 1-line block ×3, first 2 shown]
	v_add_f16_e64 v147, v0, v25
	v_sub_f16_e64 v149, v156, v158
	v_add_f16_e64 v151, v44, v156
	v_sub_f16_e32 v25, v25, v26
	v_add_f16_e64 v153, v1, v27
	v_sub_f16_e64 v156, v160, v162
	v_add_f16_e64 v157, v45, v160
	v_sub_f16_e32 v27, v27, v33
	v_add_f16_e64 v160, v7, v34
	v_sub_f16_e32 v34, v34, v6
	v_add_f16_e32 v9, v35, v9
	v_add_f16_e64 v35, v47, v142
	v_fma_f16 v0, -0.5, v148, v0
	v_fmac_f16_e64 v44, -0.5, v152
	v_fmac_f16_e64 v1, -0.5, v155
	;; [unrolled: 1-line block ×5, first 2 shown]
	v_fmamk_f16 v57, v46, 0x3aee, v4
	v_fmac_f16_e32 v4, 0xbaee, v46
	v_fmamk_f16 v46, v8, 0xbaee, v21
	v_fmac_f16_e32 v21, 0x3aee, v8
	v_add_f16_e32 v10, v49, v10
	v_add_f16_e64 v36, v56, v146
	v_fmamk_f16 v8, v55, 0x3aee, v5
	v_fmac_f16_e32 v5, 0xbaee, v55
	v_fmamk_f16 v55, v11, 0xbaee, v41
	v_fmac_f16_e32 v41, 0x3aee, v11
	v_add_f16_e32 v20, v58, v20
	v_add_f16_e64 v47, v61, v150
	v_fmamk_f16 v11, v60, 0x3aee, v2
	v_fmamk_f16 v58, v19, 0xbaee, v42
	v_fmac_f16_e32 v42, 0x3aee, v19
	v_fma_f16 v19, 0x3aee, v143, v3
	v_fmamk_f16 v59, v23, 0xbaee, v43
	v_add_f16_e64 v24, v138, v24
	v_add_f16_e64 v48, v144, v154
	;; [unrolled: 1-line block ×8, first 2 shown]
	v_fmac_f16_e32 v2, 0xbaee, v60
	v_fmac_f16_e64 v3, 0xbaee, v143
	v_fmac_f16_e32 v43, 0x3aee, v23
	v_fma_f16 v23, 0x3aee, v149, v0
	v_fmac_f16_e64 v0, 0xbaee, v149
	v_fmamk_f16 v60, v25, 0xbaee, v44
	v_fmac_f16_e32 v44, 0x3aee, v25
	v_fma_f16 v25, 0x3aee, v156, v1
	v_fmac_f16_e64 v1, 0xbaee, v156
	v_fmamk_f16 v61, v27, 0xbaee, v45
	v_fmac_f16_e32 v45, 0x3aee, v27
	v_fma_f16 v27, 0x3aee, v163, v7
	v_fmac_f16_e64 v7, 0xbaee, v163
	v_fma_f16 v137, 0xbaee, v34, v62
	v_fmac_f16_e32 v62, 0x3aee, v34
	v_pack_b32_f16 v9, v9, v35
	v_pack_b32_f16 v34, v57, v46
	;; [unrolled: 1-line block ×21, first 2 shown]
	ds_store_2addr_b32 v136, v9, v34 offset1:4
	ds_store_b32 v136, v4 offset:32
	ds_store_2addr_b32 v135, v10, v8 offset1:4
	ds_store_b32 v135, v5 offset:32
	;; [unrolled: 2-line block ×7, first 2 shown]
	v_mad_co_u64_u32 v[19:20], null, v16, 24, s[2:3]
	global_wb scope:SCOPE_SE
	s_wait_dscnt 0x0
	s_barrier_signal -1
	s_barrier_wait -1
	global_inv scope:SCOPE_SE
	s_clause 0x5
	global_load_b128 v[8:11], v[37:38], off offset:40
	global_load_b64 v[37:38], v[37:38], off offset:56
	global_load_b128 v[4:7], v[39:40], off offset:40
	global_load_b64 v[35:36], v[39:40], off offset:56
	;; [unrolled: 2-line block ×3, first 2 shown]
	v_and_b32_e32 v27, 0xffff, v13
	v_and_b32_e32 v45, 0xffff, v14
	v_mul_u32_u24_e32 v47, 0x54, v18
	ds_load_2addr_b32 v[13:14], v63 offset1:44
	ds_load_2addr_b32 v[18:19], v63 offset0:88 offset1:132
	ds_load_2addr_b32 v[20:21], v54 offset0:8 offset1:52
	;; [unrolled: 1-line block ×7, first 2 shown]
	v_mul_u32_u24_e32 v12, 0x54, v27
	v_mul_u32_u24_e32 v27, 0x54, v45
	ds_load_2addr_b32 v[45:46], v54 offset0:184 offset1:228
	v_add_lshl_u32 v139, v47, v17, 2
	ds_load_2addr_b32 v[47:48], v53 offset0:192 offset1:236
	v_add_lshl_u32 v138, v12, v15, 2
	ds_load_b32 v12, v63 offset:3520
	v_add_lshl_u32 v137, v27, v16, 2
	v_add_nc_u32_e32 v56, 0x600, v63
	global_wb scope:SCOPE_SE
	s_wait_loadcnt_dscnt 0x0
	s_barrier_signal -1
	s_barrier_wait -1
	v_lshrrev_b32_e32 v15, 16, v13
	v_lshrrev_b32_e32 v16, 16, v19
	v_lshrrev_b32_e32 v17, 16, v20
	v_lshrrev_b32_e32 v27, 16, v24
	v_lshrrev_b32_e32 v49, 16, v25
	v_lshrrev_b32_e32 v50, 16, v40
	v_lshrrev_b32_e32 v55, 16, v41
	v_lshrrev_b32_e32 v58, 16, v43
	v_lshrrev_b32_e32 v59, 16, v21
	v_lshrrev_b32_e32 v61, 16, v26
	v_lshrrev_b32_e32 v60, 16, v45
	v_lshrrev_b32_e32 v160, 16, v42
	v_lshrrev_b32_e32 v62, 16, v47
	v_lshrrev_b32_e32 v162, 16, v44
	v_lshrrev_b32_e32 v163, 16, v23
	v_lshrrev_b32_e32 v166, 16, v48
	v_lshrrev_b32_e32 v167, 16, v12
	v_lshrrev_b32_e32 v164, 16, v46
	v_lshrrev_b32_e32 v165, 16, v39
	v_lshrrev_b32_e32 v57, 16, v14
	v_lshrrev_b32_e32 v161, 16, v18
	global_inv scope:SCOPE_SE
	v_lshrrev_b32_e32 v155, 16, v37
	v_lshrrev_b32_e32 v154, 16, v38
	;; [unrolled: 1-line block ×18, first 2 shown]
	v_mul_f16_e64 v168, v16, v159
	v_mul_f16_e64 v169, v19, v159
	;; [unrolled: 1-line block ×36, first 2 shown]
	v_fma_f16 v19, v19, v8, -v168
	v_fmac_f16_e64 v169, v16, v8
	v_fma_f16 v16, v20, v9, -v170
	v_fmac_f16_e64 v171, v17, v9
	v_fma_f16 v17, v24, v10, -v172
	v_fma_f16 v20, v25, v11, -v174
	;; [unrolled: 1-line block ×3, first 2 shown]
	v_fmac_f16_e64 v177, v50, v37
	v_fma_f16 v25, v41, v38, -v178
	v_fmac_f16_e64 v179, v55, v38
	v_fmac_f16_e64 v173, v27, v10
	;; [unrolled: 1-line block ×3, first 2 shown]
	v_fma_f16 v27, v43, v4, -v180
	v_fmac_f16_e64 v181, v58, v4
	v_fma_f16 v21, v21, v5, -v182
	v_fmac_f16_e64 v183, v59, v5
	;; [unrolled: 2-line block ×12, first 2 shown]
	v_add_f16_e32 v46, v19, v25
	v_add_f16_e64 v47, v169, v179
	v_add_f16_e32 v48, v16, v24
	v_add_f16_e64 v49, v171, v177
	v_sub_f16_e32 v19, v19, v25
	v_sub_f16_e64 v25, v169, v179
	v_sub_f16_e32 v16, v16, v24
	v_sub_f16_e64 v24, v171, v177
	v_add_f16_e32 v50, v17, v20
	v_add_f16_e64 v55, v173, v175
	v_sub_f16_e32 v17, v20, v17
	v_sub_f16_e64 v20, v175, v173
	v_add_f16_e32 v58, v27, v42
	v_add_f16_e64 v59, v181, v191
	;; [unrolled: 4-line block ×4, first 2 shown]
	v_sub_f16_e32 v26, v26, v40
	v_sub_f16_e64 v40, v187, v185
	v_add_f16_e64 v162, v43, v12
	v_add_f16_e64 v163, v193, v203
	;; [unrolled: 1-line block ×4, first 2 shown]
	v_sub_f16_e32 v12, v43, v12
	v_sub_f16_e64 v43, v193, v203
	v_sub_f16_e32 v23, v23, v45
	v_sub_f16_e64 v45, v195, v201
	v_add_f16_e64 v166, v44, v39
	v_sub_f16_e32 v39, v39, v44
	v_sub_f16_e64 v44, v199, v197
	v_add_f16_e64 v168, v48, v46
	v_add_f16_e64 v169, v49, v47
	;; [unrolled: 1-line block ×3, first 2 shown]
	v_sub_f16_e64 v170, v48, v46
	v_sub_f16_e64 v171, v49, v47
	v_sub_f16_e32 v46, v46, v50
	v_sub_f16_e32 v47, v47, v55
	;; [unrolled: 1-line block ×4, first 2 shown]
	v_add_f16_e64 v172, v17, v16
	v_add_f16_e64 v173, v20, v24
	v_sub_f16_e64 v174, v17, v16
	v_sub_f16_e64 v175, v20, v24
	v_sub_f16_e32 v16, v16, v19
	v_sub_f16_e32 v24, v24, v25
	v_add_f16_e64 v176, v60, v58
	v_add_f16_e64 v177, v61, v59
	v_sub_f16_e64 v178, v60, v58
	v_sub_f16_e64 v179, v61, v59
	v_sub_f16_e32 v60, v62, v60
	v_sub_f16_e64 v61, v160, v61
	v_add_f16_e64 v180, v26, v21
	v_add_f16_e64 v181, v40, v41
	v_sub_f16_e64 v182, v26, v21
	v_sub_f16_e64 v183, v40, v41
	v_sub_f16_e32 v21, v21, v27
	v_sub_f16_e32 v41, v41, v42
	v_add_f16_e64 v184, v164, v162
	v_add_f16_e64 v185, v165, v163
	v_sub_f16_e32 v58, v58, v62
	v_sub_f16_e64 v59, v59, v160
	v_add_f16_e64 v188, v39, v23
	v_add_f16_e64 v189, v44, v45
	v_sub_f16_e64 v190, v39, v23
	v_sub_f16_e64 v191, v44, v45
	v_sub_f16_e32 v23, v23, v12
	v_sub_f16_e32 v45, v45, v43
	v_add_f16_e64 v50, v50, v168
	v_add_f16_e64 v55, v55, v169
	v_sub_f16_e32 v17, v19, v17
	v_sub_f16_e32 v20, v25, v20
	;; [unrolled: 1-line block ×4, first 2 shown]
	v_sub_f16_e64 v186, v164, v162
	v_sub_f16_e64 v187, v165, v163
	v_sub_f16_e64 v162, v162, v166
	v_sub_f16_e64 v163, v163, v167
	v_sub_f16_e64 v164, v166, v164
	v_sub_f16_e64 v165, v167, v165
	v_add_f16_e64 v19, v172, v19
	v_add_f16_e64 v25, v173, v25
	v_mul_f16_e32 v46, 0x3a52, v46
	v_mul_f16_e32 v47, 0x3a52, v47
	v_mul_f16_e64 v168, 0x2b26, v48
	v_mul_f16_e64 v169, 0x2b26, v49
	;; [unrolled: 1-line block ×6, first 2 shown]
	v_add_f16_e64 v62, v62, v176
	v_add_f16_e64 v160, v160, v177
	;; [unrolled: 1-line block ×4, first 2 shown]
	v_mul_f16_e64 v176, 0x2b26, v60
	v_mul_f16_e64 v177, 0x2b26, v61
	;; [unrolled: 1-line block ×6, first 2 shown]
	v_add_f16_e64 v166, v166, v184
	v_add_f16_e64 v167, v167, v185
	v_sub_f16_e32 v39, v12, v39
	v_sub_f16_e32 v44, v43, v44
	v_mul_f16_e32 v58, 0x3a52, v58
	v_mul_f16_e32 v59, 0x3a52, v59
	v_add_f16_e64 v12, v188, v12
	v_add_f16_e64 v43, v189, v43
	v_mul_f16_e64 v188, 0xb846, v190
	v_mul_f16_e64 v189, 0xb846, v191
	;; [unrolled: 1-line block ×4, first 2 shown]
	v_add_f16_e32 v13, v13, v50
	v_add_f16_e32 v15, v15, v55
	v_mul_f16_e64 v162, 0x3a52, v162
	v_mul_f16_e64 v163, 0x3a52, v163
	;; [unrolled: 1-line block ×4, first 2 shown]
	v_fmamk_f16 v48, v48, 0x2b26, v46
	v_fmamk_f16 v49, v49, 0x2b26, v47
	v_fma_f16 v168, v170, 0x39e0, -v168
	v_fma_f16 v169, v171, 0x39e0, -v169
	;; [unrolled: 1-line block ×4, first 2 shown]
	v_fma_f16 v170, 0x3574, v17, v172
	v_fma_f16 v171, 0x3574, v20, v173
	v_fma_f16 v16, v16, 0x3b00, -v172
	v_fma_f16 v24, v24, 0x3b00, -v173
	;; [unrolled: 1-line block ×4, first 2 shown]
	v_add_f16_e32 v14, v14, v62
	v_add_f16_e64 v173, v57, v160
	v_fma_f16 v174, v178, 0x39e0, -v176
	v_fma_f16 v175, v179, 0x39e0, -v177
	v_fma_f16 v176, 0x3574, v26, v180
	v_fma_f16 v177, 0x3574, v40, v181
	v_fma_f16 v21, v21, 0x3b00, -v180
	v_fma_f16 v41, v41, 0x3b00, -v181
	;; [unrolled: 1-line block ×4, first 2 shown]
	v_add_f16_e64 v17, v18, v166
	v_add_f16_e64 v57, v161, v167
	v_fmamk_f16 v60, v60, 0x2b26, v58
	v_fmamk_f16 v61, v61, 0x2b26, v59
	v_fma_f16 v58, v178, 0xb9e0, -v58
	v_fma_f16 v59, v179, 0xb9e0, -v59
	v_fma_f16 v178, 0x3574, v39, v188
	v_fma_f16 v179, 0x3574, v44, v189
	v_fma_f16 v23, v23, 0x3b00, -v188
	v_fma_f16 v181, v45, 0x3b00, -v189
	;; [unrolled: 1-line block ×4, first 2 shown]
	v_fmamk_f16 v44, v50, 0xbcab, v13
	v_fmamk_f16 v45, v55, 0xbcab, v15
	v_fma_f16 v18, 0x2b26, v164, v162
	v_fma_f16 v161, 0x2b26, v165, v163
	v_fma_f16 v164, v186, 0x39e0, -v184
	v_fma_f16 v165, v187, 0x39e0, -v185
	;; [unrolled: 1-line block ×4, first 2 shown]
	v_fmac_f16_e64 v170, 0x370e, v19
	v_fmac_f16_e64 v171, 0x370e, v25
	v_fmac_f16_e32 v16, 0x370e, v19
	v_fmac_f16_e32 v24, 0x370e, v25
	v_fmac_f16_e64 v172, 0x370e, v19
	v_fmac_f16_e32 v20, 0x370e, v25
	v_fmamk_f16 v19, v62, 0xbcab, v14
	v_fma_f16 v25, 0xbcab, v160, v173
	v_fmac_f16_e64 v176, 0x370e, v27
	v_fmac_f16_e64 v177, 0x370e, v42
	v_fmac_f16_e32 v21, 0x370e, v27
	v_fmac_f16_e32 v41, 0x370e, v42
	;; [unrolled: 1-line block ×4, first 2 shown]
	v_fma_f16 v27, 0xbcab, v166, v17
	v_fma_f16 v42, 0xbcab, v167, v57
	v_fmac_f16_e64 v178, 0x370e, v12
	v_fmac_f16_e64 v179, 0x370e, v43
	v_fmac_f16_e32 v23, 0x370e, v12
	v_fmac_f16_e64 v181, 0x370e, v43
	v_fmac_f16_e32 v39, 0x370e, v12
	v_fmac_f16_e64 v182, 0x370e, v43
	v_pack_b32_f16 v12, v13, v15
	v_add_f16_e32 v15, v48, v44
	v_add_f16_e32 v43, v49, v45
	v_add_f16_e64 v48, v168, v44
	v_add_f16_e64 v49, v169, v45
	v_add_f16_e32 v44, v46, v44
	v_add_f16_e32 v45, v47, v45
	;; [unrolled: 1-line block ×4, first 2 shown]
	v_add_f16_e64 v50, v174, v19
	v_add_f16_e64 v55, v175, v25
	v_add_f16_e32 v19, v58, v19
	v_add_f16_e32 v25, v59, v25
	;; [unrolled: 1-line block ×3, first 2 shown]
	v_add_f16_e64 v59, v161, v42
	v_add_f16_e64 v62, v164, v27
	;; [unrolled: 1-line block ×6, first 2 shown]
	v_sub_f16_e64 v162, v43, v170
	v_add_f16_e64 v163, v20, v44
	v_sub_f16_e64 v164, v45, v172
	v_sub_f16_e64 v165, v48, v24
	v_add_f16_e64 v166, v16, v49
	v_add_f16_e32 v24, v24, v48
	v_sub_f16_e64 v167, v49, v16
	v_sub_f16_e32 v20, v44, v20
	v_add_f16_e64 v172, v172, v45
	v_sub_f16_e64 v15, v15, v171
	v_add_f16_e64 v170, v170, v43
	v_pack_b32_f16 v13, v14, v173
	v_add_f16_e64 v171, v177, v46
	v_sub_f16_e64 v173, v47, v176
	v_sub_f16_e32 v44, v19, v40
	v_add_f16_e32 v58, v26, v25
	v_sub_f16_e64 v16, v46, v177
	v_add_f16_e64 v180, v176, v47
	v_add_f16_e64 v45, v179, v18
	v_sub_f16_e64 v60, v59, v178
	v_add_f16_e64 v46, v182, v27
	v_sub_f16_e32 v61, v42, v39
	v_sub_f16_e64 v49, v62, v181
	v_add_f16_e64 v169, v23, v160
	v_add_f16_e64 v174, v40, v19
	v_sub_f16_e64 v175, v25, v26
	v_sub_f16_e64 v183, v50, v41
	v_add_f16_e64 v184, v21, v55
	v_add_f16_e32 v43, v41, v50
	v_sub_f16_e32 v55, v55, v21
	v_add_f16_e64 v50, v181, v62
	v_sub_f16_e64 v168, v160, v23
	v_sub_f16_e64 v47, v27, v182
	v_add_f16_e32 v62, v39, v42
	v_sub_f16_e64 v48, v18, v179
	v_add_f16_e64 v59, v178, v59
	v_pack_b32_f16 v18, v161, v162
	v_pack_b32_f16 v19, v163, v164
	;; [unrolled: 1-line block ×19, first 2 shown]
	ds_store_2addr_b32 v139, v12, v18 offset1:12
	ds_store_2addr_b32 v139, v19, v21 offset0:24 offset1:36
	ds_store_2addr_b32 v139, v23, v20 offset0:48 offset1:60
	ds_store_b32 v139, v15 offset:288
	ds_store_2addr_b32 v138, v13, v24 offset1:12
	ds_store_2addr_b32 v138, v25, v26 offset0:24 offset1:36
	ds_store_2addr_b32 v138, v27, v39 offset0:48 offset1:60
	ds_store_b32 v138, v40 offset:288
	;; [unrolled: 4-line block ×3, first 2 shown]
	global_wb scope:SCOPE_SE
	s_wait_dscnt 0x0
	s_barrier_signal -1
	s_barrier_wait -1
	global_inv scope:SCOPE_SE
	ds_load_2addr_b32 v[18:19], v63 offset1:84
	ds_load_2addr_b32 v[41:42], v63 offset0:168 offset1:252
	ds_load_2addr_b32 v[14:15], v54 offset0:80 offset1:164
	;; [unrolled: 1-line block ×4, first 2 shown]
	ds_load_b32 v160, v63 offset:3360
	s_and_saveexec_b32 s1, s0
	s_cbranch_execz .LBB0_13
; %bb.12:
	v_add_nc_u32_e32 v16, 0x200, v63
	v_add_nc_u32_e32 v20, 0xa00, v63
	ds_load_2addr_b32 v[43:44], v63 offset0:44 offset1:128
	ds_load_2addr_b32 v[45:46], v54 offset0:124 offset1:208
	;; [unrolled: 1-line block ×5, first 2 shown]
	ds_load_b32 v51, v63 offset:3536
	s_wait_dscnt 0x3
	v_lshrrev_b32_e32 v169, 16, v49
	v_lshrrev_b32_e32 v55, 16, v43
	;; [unrolled: 1-line block ×6, first 2 shown]
	s_wait_dscnt 0x2
	v_lshrrev_b32_e32 v180, 16, v16
	v_lshrrev_b32_e32 v57, 16, v17
	s_wait_dscnt 0x1
	v_lshrrev_b32_e32 v62, 16, v47
	v_lshrrev_b32_e32 v59, 16, v48
	s_wait_dscnt 0x0
	v_lshrrev_b32_e32 v52, 16, v51
.LBB0_13:
	s_wait_alu 0xfffe
	s_or_b32 exec_lo, exec_lo, s1
	v_subrev_nc_u32_e32 v20, 40, v96
	v_mad_co_u64_u32 v[161:162], null, v96, 40, s[2:3]
	s_wait_dscnt 0x4
	v_lshrrev_b32_e32 v163, 16, v41
	s_wait_dscnt 0x3
	v_lshrrev_b32_e32 v175, 16, v14
	v_cndmask_b32_e64 v20, v20, v22, s0
	v_lshrrev_b32_e32 v165, 16, v42
	v_lshrrev_b32_e32 v179, 16, v15
	s_wait_dscnt 0x2
	v_lshrrev_b32_e32 v188, 16, v12
	s_wait_dscnt 0x1
	v_lshrrev_b32_e32 v194, 16, v40
	v_mul_i32_i24_e32 v21, 40, v20
	v_mul_hi_i32_i24_e32 v20, 40, v20
	v_lshrrev_b32_e32 v190, 16, v13
	v_lshrrev_b32_e32 v202, 16, v18
	s_delay_alu instid0(VALU_DEP_4)
	v_add_co_u32 v166, s1, s2, v21
	s_wait_alu 0xf1ff
	v_add_co_ci_u32_e64 v167, s1, s3, v20, s1
	s_clause 0x1
	global_load_b128 v[24:27], v[161:162], off offset:328
	global_load_b128 v[20:23], v[161:162], off offset:344
	s_wait_loadcnt 0x1
	v_lshrrev_b32_e32 v178, 16, v25
	v_lshrrev_b32_e32 v177, 16, v27
	;; [unrolled: 1-line block ×3, first 2 shown]
	s_wait_loadcnt 0x0
	v_lshrrev_b32_e32 v174, 16, v20
	v_lshrrev_b32_e32 v172, 16, v21
	v_mul_f16_e64 v164, v163, v178
	v_mul_f16_e64 v182, v41, v178
	;; [unrolled: 1-line block ×5, first 2 shown]
	v_fma_f16 v164, v41, v25, -v164
	v_mul_f16_e64 v41, v175, v177
	v_fma_f16 v181, v42, v26, -v170
	v_lshrrev_b32_e32 v171, 16, v23
	v_mul_f16_e64 v192, v12, v172
	v_fmac_f16_e64 v186, v175, v27
	v_fma_f16 v184, v14, v27, -v41
	v_mul_f16_e64 v41, v179, v174
	v_mul_f16_e64 v14, v188, v172
	;; [unrolled: 1-line block ×3, first 2 shown]
	v_fmac_f16_e64 v182, v163, v25
	v_fmac_f16_e64 v183, v165, v26
	v_fma_f16 v185, v15, v20, -v41
	global_load_b64 v[41:42], v[161:162], off offset:360
	v_lshrrev_b32_e32 v161, 16, v39
	v_fma_f16 v189, v12, v21, -v14
	v_fmac_f16_e64 v187, v179, v20
	v_lshrrev_b32_e32 v179, 16, v24
	v_lshrrev_b32_e32 v173, 16, v22
	v_mul_f16_e64 v12, v161, v171
	v_fmac_f16_e64 v192, v188, v21
	v_add_f16_e64 v230, v185, v189
	v_mul_f16_e64 v165, v19, v179
	v_mul_f16_e64 v193, v13, v173
	v_fma_f16 v162, v39, v23, -v12
	v_mul_f16_e64 v39, v39, v171
	v_mul_f16_e64 v14, v190, v173
	v_add_f16_e64 v233, v187, v192
	v_fmac_f16_e64 v193, v190, v22
	v_add_f16_e64 v214, v181, v162
	v_fmac_f16_e64 v39, v161, v23
	s_wait_dscnt 0x0
	v_lshrrev_b32_e32 v161, 16, v160
	v_fma_f16 v191, v13, v22, -v14
	v_add_f16_e64 v225, v186, v193
	global_load_b128 v[12:15], v[166:167], off offset:328
	v_add_f16_e64 v217, v183, v39
	v_add_f16_e64 v222, v184, v191
	s_wait_loadcnt 0x1
	v_lshrrev_b32_e32 v175, 16, v42
	v_lshrrev_b32_e32 v170, 16, v41
	s_delay_alu instid0(VALU_DEP_2) | instskip(NEXT) | instid1(VALU_DEP_2)
	v_mul_f16_e64 v163, v161, v175
	v_mul_f16_e64 v195, v194, v170
	s_delay_alu instid0(VALU_DEP_2) | instskip(SKIP_1) | instid1(VALU_DEP_3)
	v_fma_f16 v163, v160, v42, -v163
	v_mul_f16_e64 v160, v160, v175
	v_fma_f16 v195, v40, v41, -v195
	v_mul_f16_e64 v40, v40, v170
	s_delay_alu instid0(VALU_DEP_3) | instskip(SKIP_1) | instid1(VALU_DEP_3)
	v_fmac_f16_e64 v160, v161, v42
	v_lshrrev_b32_e32 v161, 16, v19
	v_fmac_f16_e64 v40, v194, v41
	v_add_f16_e64 v197, v164, v195
	v_sub_f16_e64 v204, v164, v195
	s_delay_alu instid0(VALU_DEP_4)
	v_fmac_f16_e64 v165, v161, v24
	v_mul_f16_e64 v161, v161, v179
	v_sub_f16_e64 v196, v182, v40
	v_add_f16_e64 v205, v182, v40
	v_mul_f16_e64 v206, 0x3beb, v204
	v_add_f16_e64 v200, v165, v160
	v_fma_f16 v19, v19, v24, -v161
	v_sub_f16_e64 v161, v165, v160
	v_mul_f16_e64 v198, 0x3beb, v196
	v_fma_f16 v207, 0xb08e, v205, v206
	v_mul_f16_e64 v209, 0x3853, v196
	v_add_f16_e64 v188, v19, v163
	v_mul_f16_e64 v190, 0xba0c, v161
	v_fma_f16 v199, v197, 0xb08e, -v198
	v_mul_f16_e64 v212, 0x3853, v204
	v_fma_f16 v210, v197, 0x3abb, -v209
	v_fmac_f16_e64 v198, 0xb08e, v197
	v_fma_f16 v194, v188, 0xb93d, -v190
	v_fmac_f16_e64 v190, 0xb93d, v188
	v_fma_f16 v213, 0x3abb, v205, v212
	v_fmac_f16_e64 v209, 0x3abb, v197
	s_delay_alu instid0(VALU_DEP_4) | instskip(NEXT) | instid1(VALU_DEP_1)
	v_add_f16_e64 v194, v18, v194
	v_add_f16_e64 v194, v199, v194
	v_sub_f16_e64 v199, v19, v163
	v_add_f16_e32 v19, v18, v19
	s_delay_alu instid0(VALU_DEP_2) | instskip(NEXT) | instid1(VALU_DEP_1)
	v_mul_f16_e64 v201, 0xba0c, v199
	v_fma_f16 v203, 0xb93d, v200, v201
	s_delay_alu instid0(VALU_DEP_1) | instskip(NEXT) | instid1(VALU_DEP_1)
	v_add_f16_e64 v203, v202, v203
	v_add_f16_e64 v203, v207, v203
	v_mul_f16_e64 v207, 0xb482, v161
	s_delay_alu instid0(VALU_DEP_1) | instskip(SKIP_1) | instid1(VALU_DEP_2)
	v_fma_f16 v208, v188, 0xbbad, -v207
	v_fmac_f16_e64 v207, 0xbbad, v188
	v_add_f16_e64 v208, v18, v208
	s_delay_alu instid0(VALU_DEP_1) | instskip(SKIP_1) | instid1(VALU_DEP_1)
	v_add_f16_e64 v208, v210, v208
	v_mul_f16_e64 v210, 0xb482, v199
	v_fma_f16 v211, 0xbbad, v200, v210
	s_delay_alu instid0(VALU_DEP_1) | instskip(NEXT) | instid1(VALU_DEP_1)
	v_add_f16_e64 v211, v202, v211
	v_add_f16_e64 v211, v213, v211
	v_sub_f16_e64 v213, v183, v39
	s_delay_alu instid0(VALU_DEP_1) | instskip(NEXT) | instid1(VALU_DEP_1)
	v_mul_f16_e64 v215, 0xb853, v213
	v_fma_f16 v216, v214, 0x3abb, -v215
	v_fmac_f16_e64 v215, 0x3abb, v214
	s_delay_alu instid0(VALU_DEP_2) | instskip(SKIP_1) | instid1(VALU_DEP_1)
	v_add_f16_e64 v194, v216, v194
	v_sub_f16_e64 v216, v181, v162
	v_mul_f16_e64 v218, 0xb853, v216
	s_delay_alu instid0(VALU_DEP_1) | instskip(NEXT) | instid1(VALU_DEP_1)
	v_fma_f16 v219, 0x3abb, v217, v218
	v_add_f16_e64 v203, v219, v203
	v_mul_f16_e64 v219, 0xba0c, v213
	s_delay_alu instid0(VALU_DEP_1) | instskip(SKIP_1) | instid1(VALU_DEP_2)
	v_fma_f16 v220, v214, 0xb93d, -v219
	v_fmac_f16_e64 v219, 0xb93d, v214
	v_add_f16_e64 v208, v220, v208
	v_mul_f16_e64 v220, 0xba0c, v216
	s_delay_alu instid0(VALU_DEP_1) | instskip(NEXT) | instid1(VALU_DEP_1)
	v_fma_f16 v221, 0xb93d, v217, v220
	v_add_f16_e64 v211, v221, v211
	v_sub_f16_e64 v221, v186, v193
	s_delay_alu instid0(VALU_DEP_1) | instskip(NEXT) | instid1(VALU_DEP_1)
	v_mul_f16_e64 v223, 0xb482, v221
	v_fma_f16 v224, v222, 0xbbad, -v223
	v_fmac_f16_e64 v223, 0xbbad, v222
	s_delay_alu instid0(VALU_DEP_2) | instskip(SKIP_1) | instid1(VALU_DEP_1)
	v_add_f16_e64 v194, v224, v194
	v_sub_f16_e64 v224, v184, v191
	v_mul_f16_e64 v226, 0xb482, v224
	s_delay_alu instid0(VALU_DEP_1) | instskip(NEXT) | instid1(VALU_DEP_1)
	v_fma_f16 v227, 0xbbad, v225, v226
	v_add_f16_e64 v203, v227, v203
	v_mul_f16_e64 v227, 0x3b47, v221
	s_delay_alu instid0(VALU_DEP_1) | instskip(SKIP_1) | instid1(VALU_DEP_2)
	v_fma_f16 v228, v222, 0x36a6, -v227
	v_fmac_f16_e64 v227, 0x36a6, v222
	v_add_f16_e64 v208, v228, v208
	v_mul_f16_e64 v228, 0x3b47, v224
	s_delay_alu instid0(VALU_DEP_1) | instskip(NEXT) | instid1(VALU_DEP_1)
	v_fma_f16 v229, 0x36a6, v225, v228
	v_add_f16_e64 v211, v229, v211
	v_sub_f16_e64 v229, v187, v192
	s_delay_alu instid0(VALU_DEP_1) | instskip(NEXT) | instid1(VALU_DEP_1)
	v_mul_f16_e64 v231, 0x3b47, v229
	v_fma_f16 v232, v230, 0x36a6, -v231
	v_fmac_f16_e64 v231, 0x36a6, v230
	s_delay_alu instid0(VALU_DEP_2) | instskip(SKIP_1) | instid1(VALU_DEP_1)
	v_add_f16_e64 v194, v232, v194
	v_sub_f16_e64 v232, v185, v189
	v_mul_f16_e64 v234, 0x3b47, v232
	s_delay_alu instid0(VALU_DEP_1) | instskip(NEXT) | instid1(VALU_DEP_1)
	v_fma_f16 v235, 0x36a6, v233, v234
	v_add_f16_e64 v203, v235, v203
	v_mul_f16_e64 v235, 0xbbeb, v229
	s_delay_alu instid0(VALU_DEP_2) | instskip(NEXT) | instid1(VALU_DEP_2)
	v_pack_b32_f16 v194, v194, v203
	v_fma_f16 v236, v230, 0xb08e, -v235
	v_fmac_f16_e64 v235, 0xb08e, v230
	s_delay_alu instid0(VALU_DEP_2) | instskip(SKIP_1) | instid1(VALU_DEP_1)
	v_add_f16_e64 v208, v236, v208
	v_mul_f16_e64 v236, 0xbbeb, v232
	v_fma_f16 v237, 0xb08e, v233, v236
	s_delay_alu instid0(VALU_DEP_1) | instskip(NEXT) | instid1(VALU_DEP_1)
	v_add_f16_e64 v211, v237, v211
	v_pack_b32_f16 v203, v208, v211
	ds_store_2addr_b32 v54, v194, v203 offset0:80 offset1:164
	v_add_f16_e64 v54, v18, v190
	v_fma_f16 v190, v200, 0xb93d, -v201
	v_fma_f16 v194, v205, 0xb08e, -v206
	;; [unrolled: 1-line block ×3, first 2 shown]
	s_delay_alu instid0(VALU_DEP_4) | instskip(SKIP_3) | instid1(VALU_DEP_4)
	v_add_f16_e64 v54, v198, v54
	v_fma_f16 v198, v200, 0xbbad, -v210
	v_add_f16_e64 v190, v202, v190
	v_mul_f16_e64 v210, 0x3482, v204
	v_add_f16_e64 v54, v215, v54
	s_delay_alu instid0(VALU_DEP_4) | instskip(NEXT) | instid1(VALU_DEP_4)
	v_add_f16_e64 v198, v202, v198
	v_add_f16_e64 v190, v194, v190
	;; [unrolled: 1-line block ×3, first 2 shown]
	v_mul_f16_e64 v207, 0x3482, v196
	v_add_f16_e64 v54, v223, v54
	v_add_f16_e64 v198, v201, v198
	v_fma_f16 v201, v217, 0x3abb, -v218
	v_add_f16_e64 v194, v209, v194
	v_fma_f16 v208, v197, 0xbbad, -v207
	v_add_f16_e64 v54, v231, v54
	v_fmac_f16_e64 v207, 0xbbad, v197
	v_add_f16_e64 v190, v201, v190
	v_fma_f16 v201, v217, 0xb93d, -v220
	v_add_f16_e64 v194, v219, v194
	v_fma_f16 v211, v205, 0xbbad, -v210
	s_delay_alu instid0(VALU_DEP_3) | instskip(SKIP_1) | instid1(VALU_DEP_4)
	v_add_f16_e64 v198, v201, v198
	v_fma_f16 v201, v225, 0xbbad, -v226
	v_add_f16_e64 v194, v227, v194
	s_delay_alu instid0(VALU_DEP_2) | instskip(SKIP_1) | instid1(VALU_DEP_3)
	v_add_f16_e64 v190, v201, v190
	v_fma_f16 v201, v225, 0x36a6, -v228
	v_add_f16_e64 v194, v235, v194
	s_delay_alu instid0(VALU_DEP_2) | instskip(SKIP_1) | instid1(VALU_DEP_1)
	v_add_f16_e64 v198, v201, v198
	v_fma_f16 v201, v233, 0xb08e, -v236
	v_add_f16_e64 v198, v201, v198
	v_fma_f16 v201, v233, 0x36a6, -v234
	s_delay_alu instid0(VALU_DEP_2) | instskip(NEXT) | instid1(VALU_DEP_2)
	v_pack_b32_f16 v194, v194, v198
	v_add_f16_e64 v190, v201, v190
	v_mul_f16_e64 v201, 0xba0c, v204
	s_delay_alu instid0(VALU_DEP_2) | instskip(SKIP_1) | instid1(VALU_DEP_3)
	v_pack_b32_f16 v54, v54, v190
	v_mul_f16_e64 v190, 0xba0c, v196
	v_fma_f16 v203, v205, 0xb93d, -v201
	ds_store_2addr_b32 v56, v194, v54 offset0:120 offset1:204
	v_mul_f16_e64 v54, 0xbb47, v161
	v_fma_f16 v194, v197, 0xb93d, -v190
	v_fmac_f16_e64 v190, 0xb93d, v197
	s_delay_alu instid0(VALU_DEP_3) | instskip(SKIP_1) | instid1(VALU_DEP_2)
	v_fma_f16 v56, v188, 0x36a6, -v54
	v_fmac_f16_e64 v54, 0x36a6, v188
	v_add_f16_e32 v56, v18, v56
	s_delay_alu instid0(VALU_DEP_2) | instskip(NEXT) | instid1(VALU_DEP_1)
	v_add_f16_e32 v54, v18, v54
	v_add_f16_e64 v54, v190, v54
	v_mul_f16_e64 v190, 0xbb47, v199
	s_delay_alu instid0(VALU_DEP_1) | instskip(NEXT) | instid1(VALU_DEP_1)
	v_fma_f16 v198, v200, 0x36a6, -v190
	v_add_f16_e64 v198, v202, v198
	s_delay_alu instid0(VALU_DEP_1) | instskip(SKIP_1) | instid1(VALU_DEP_1)
	v_add_f16_e64 v198, v203, v198
	v_mul_f16_e64 v203, 0xbbeb, v161
	v_fma_f16 v206, v188, 0xb08e, -v203
	v_fmac_f16_e64 v203, 0xb08e, v188
	s_delay_alu instid0(VALU_DEP_1) | instskip(NEXT) | instid1(VALU_DEP_1)
	v_add_f16_e64 v203, v18, v203
	v_add_f16_e64 v203, v207, v203
	v_mul_f16_e64 v207, 0xbbeb, v199
	s_delay_alu instid0(VALU_DEP_1) | instskip(NEXT) | instid1(VALU_DEP_1)
	v_fma_f16 v209, v200, 0xb08e, -v207
	v_add_f16_e64 v209, v202, v209
	s_delay_alu instid0(VALU_DEP_1) | instskip(SKIP_1) | instid1(VALU_DEP_1)
	v_add_f16_e64 v209, v211, v209
	v_mul_f16_e64 v211, 0x3482, v213
	v_fma_f16 v212, v214, 0xbbad, -v211
	v_fmac_f16_e64 v211, 0xbbad, v214
	s_delay_alu instid0(VALU_DEP_1) | instskip(SKIP_1) | instid1(VALU_DEP_1)
	v_add_f16_e64 v54, v211, v54
	v_mul_f16_e64 v211, 0x3482, v216
	v_fma_f16 v215, v217, 0xbbad, -v211
	s_delay_alu instid0(VALU_DEP_1) | instskip(SKIP_1) | instid1(VALU_DEP_1)
	v_add_f16_e64 v198, v215, v198
	v_mul_f16_e64 v215, 0x3b47, v213
	v_fma_f16 v218, v214, 0x36a6, -v215
	v_fmac_f16_e64 v215, 0x36a6, v214
	s_delay_alu instid0(VALU_DEP_1) | instskip(SKIP_1) | instid1(VALU_DEP_1)
	v_add_f16_e64 v203, v215, v203
	v_mul_f16_e64 v215, 0x3b47, v216
	v_fma_f16 v219, v217, 0x36a6, -v215
	;; [unrolled: 9-line block ×5, first 2 shown]
	v_fmac_f16_e64 v227, 0xb93d, v230
	s_delay_alu instid0(VALU_DEP_1) | instskip(SKIP_1) | instid1(VALU_DEP_1)
	v_add_f16_e64 v203, v227, v203
	v_mul_f16_e64 v227, 0xba0c, v232
	v_fma_f16 v234, v233, 0xb93d, -v227
	s_delay_alu instid0(VALU_DEP_1) | instskip(SKIP_1) | instid1(VALU_DEP_2)
	v_add_f16_e64 v209, v234, v209
	v_mul_f16_e64 v234, 0x3853, v232
	v_pack_b32_f16 v203, v203, v209
	s_delay_alu instid0(VALU_DEP_2) | instskip(NEXT) | instid1(VALU_DEP_1)
	v_fma_f16 v235, v233, 0x3abb, -v234
	v_add_f16_e64 v198, v235, v198
	s_delay_alu instid0(VALU_DEP_1) | instskip(SKIP_3) | instid1(VALU_DEP_2)
	v_pack_b32_f16 v54, v54, v198
	ds_store_2addr_b32 v53, v203, v54 offset0:160 offset1:244
	v_mul_f16_e64 v53, 0xb853, v161
	v_fma_f16 v161, 0xb93d, v205, v201
	v_fma_f16 v54, v188, 0x3abb, -v53
	v_fmac_f16_e64 v53, 0x3abb, v188
	v_fma_f16 v188, 0xbbad, v205, v210
	s_delay_alu instid0(VALU_DEP_3) | instskip(NEXT) | instid1(VALU_DEP_3)
	v_add_f16_e32 v54, v18, v54
	v_add_f16_e64 v198, v18, v53
	v_add_f16_e64 v53, v194, v56
	v_fma_f16 v56, 0x36a6, v200, v190
	v_add_f16_e64 v18, v18, v206
	v_mul_f16_e64 v194, 0xbbeb, v216
	s_delay_alu instid0(VALU_DEP_4) | instskip(NEXT) | instid1(VALU_DEP_4)
	v_add_f16_e64 v53, v212, v53
	v_add_f16_e64 v56, v202, v56
	s_delay_alu instid0(VALU_DEP_4) | instskip(NEXT) | instid1(VALU_DEP_3)
	v_add_f16_e64 v18, v208, v18
	v_add_f16_e64 v53, v220, v53
	s_delay_alu instid0(VALU_DEP_3) | instskip(SKIP_1) | instid1(VALU_DEP_4)
	v_add_f16_e64 v56, v161, v56
	v_fma_f16 v161, 0xb08e, v200, v207
	v_add_f16_e64 v18, v218, v18
	s_delay_alu instid0(VALU_DEP_4) | instskip(NEXT) | instid1(VALU_DEP_3)
	v_add_f16_e64 v53, v228, v53
	v_add_f16_e64 v161, v202, v161
	s_delay_alu instid0(VALU_DEP_3) | instskip(NEXT) | instid1(VALU_DEP_2)
	v_add_f16_e64 v18, v226, v18
	v_add_f16_e64 v161, v188, v161
	v_fma_f16 v188, 0xbbad, v217, v211
	s_delay_alu instid0(VALU_DEP_3) | instskip(NEXT) | instid1(VALU_DEP_2)
	v_add_f16_e64 v18, v231, v18
	v_add_f16_e64 v56, v188, v56
	v_fma_f16 v188, 0x36a6, v217, v215
	s_delay_alu instid0(VALU_DEP_1) | instskip(SKIP_1) | instid1(VALU_DEP_1)
	v_add_f16_e64 v161, v188, v161
	v_fma_f16 v188, 0xb08e, v225, v219
	v_add_f16_e64 v56, v188, v56
	v_fma_f16 v188, 0x3abb, v225, v223
	s_delay_alu instid0(VALU_DEP_1) | instskip(SKIP_1) | instid1(VALU_DEP_1)
	v_add_f16_e64 v161, v188, v161
	v_fma_f16 v188, 0x3abb, v233, v234
	v_add_f16_e64 v56, v188, v56
	v_fma_f16 v188, 0xb93d, v233, v227
	s_delay_alu instid0(VALU_DEP_2) | instskip(NEXT) | instid1(VALU_DEP_2)
	v_pack_b32_f16 v53, v53, v56
	v_add_f16_e64 v161, v188, v161
	s_delay_alu instid0(VALU_DEP_1)
	v_pack_b32_f16 v18, v18, v161
	ds_store_2addr_b32 v63, v53, v18 offset0:168 offset1:252
	v_add_f16_e64 v18, v19, v164
	v_add_f16_e64 v19, v202, v165
	s_wait_loadcnt 0x0
	v_lshrrev_b32_e32 v165, 16, v13
	s_delay_alu instid0(VALU_DEP_3) | instskip(NEXT) | instid1(VALU_DEP_3)
	v_add_f16_e64 v18, v18, v181
	v_add_f16_e64 v19, v19, v182
	v_mul_f16_e64 v181, 0xbb47, v196
	v_mul_f16_e64 v182, 0xb853, v199
	;; [unrolled: 1-line block ×3, first 2 shown]
	v_add_f16_e64 v18, v18, v184
	v_add_f16_e64 v19, v19, v183
	v_fma_f16 v53, v197, 0x36a6, -v181
	v_mul_f16_e64 v183, 0xbb47, v204
	v_mul_f16_e64 v199, 0xb482, v229
	v_add_f16_e64 v18, v18, v185
	v_add_f16_e64 v19, v19, v186
	v_add_f16_e32 v53, v53, v54
	v_fma_f16 v54, 0x3abb, v200, v182
	v_fma_f16 v56, 0x36a6, v205, v183
	v_add_f16_e64 v18, v18, v189
	v_add_f16_e64 v19, v19, v187
	v_mul_f16_e64 v185, v16, v165
	v_add_f16_e64 v54, v202, v54
	v_fmac_f16_e64 v181, 0x36a6, v197
	v_add_f16_e64 v18, v18, v191
	v_add_f16_e64 v19, v19, v192
	v_mul_f16_e64 v192, 0xbbeb, v213
	v_add_f16_e32 v54, v56, v54
	v_fmac_f16_e64 v185, v180, v13
	v_add_f16_e64 v18, v18, v162
	v_add_f16_e64 v19, v19, v193
	v_fma_f16 v56, v214, 0xb08e, -v192
	v_mul_f16_e64 v193, 0xba0c, v221
	v_lshrrev_b32_e32 v162, 16, v15
	v_add_f16_e64 v18, v18, v195
	v_add_f16_e32 v19, v19, v39
	v_add_f16_e32 v53, v56, v53
	v_fma_f16 v56, 0xb08e, v217, v194
	v_mul_f16_e64 v195, 0xb482, v232
	v_fma_f16 v39, v230, 0xbbad, -v199
	v_add_f16_e32 v19, v19, v40
	v_add_f16_e64 v18, v18, v163
	v_add_f16_e32 v54, v56, v54
	v_fma_f16 v56, v222, 0xb93d, -v193
	v_fma_f16 v40, 0xbbad, v233, v195
	v_add_f16_e64 v19, v19, v160
	v_lshrrev_b32_e32 v163, 16, v14
	v_mul_f16_e64 v191, v45, v162
	v_add_f16_e32 v53, v56, v53
	v_fma_f16 v56, 0xb93d, v225, v196
	v_pack_b32_f16 v18, v18, v19
	v_fmac_f16_e64 v192, 0xb08e, v214
	v_fmac_f16_e64 v191, v60, v15
	v_add_f16_e32 v39, v39, v53
	v_add_f16_e32 v54, v56, v54
	v_mul_f16_e64 v56, v17, v163
	v_fmac_f16_e64 v193, 0xb93d, v222
	v_fmac_f16_e64 v199, 0xbbad, v230
	s_delay_alu instid0(VALU_DEP_4) | instskip(NEXT) | instid1(VALU_DEP_4)
	v_add_f16_e32 v40, v40, v54
	v_fmac_f16_e32 v56, v57, v14
	s_delay_alu instid0(VALU_DEP_2) | instskip(SKIP_2) | instid1(VALU_DEP_1)
	v_pack_b32_f16 v39, v39, v40
	ds_store_2addr_b32 v63, v18, v39 offset1:84
	v_mul_f16_e64 v18, v180, v165
	v_fma_f16 v184, v16, v13, -v18
	v_mul_f16_e64 v18, v57, v163
	v_mul_f16_e64 v16, v60, v162
	v_fma_f16 v57, v205, 0x36a6, -v183
	v_fma_f16 v60, v217, 0xb08e, -v194
	s_delay_alu instid0(VALU_DEP_4) | instskip(NEXT) | instid1(VALU_DEP_4)
	v_fma_f16 v54, v17, v14, -v18
	v_fma_f16 v53, v45, v15, -v16
	s_clause 0x1
	global_load_b64 v[39:40], v[166:167], off offset:360
	global_load_b128 v[16:19], v[166:167], off offset:344
	s_wait_loadcnt 0x1
	v_lshrrev_b32_e32 v167, 16, v39
	s_wait_loadcnt 0x0
	v_lshrrev_b32_e32 v160, 16, v16
	v_lshrrev_b32_e32 v164, 16, v18
	;; [unrolled: 1-line block ×3, first 2 shown]
	s_delay_alu instid0(VALU_DEP_3) | instskip(SKIP_1) | instid1(VALU_DEP_2)
	v_mul_f16_e64 v161, v61, v160
	v_mul_f16_e64 v189, v46, v160
	v_fma_f16 v188, v46, v16, -v161
	v_lshrrev_b32_e32 v161, 16, v17
	s_delay_alu instid0(VALU_DEP_3) | instskip(SKIP_1) | instid1(VALU_DEP_3)
	v_fmac_f16_e64 v189, v61, v16
	v_add_f16_e64 v61, v181, v198
	v_mul_f16_e64 v45, v169, v161
	v_mul_f16_e64 v190, v49, v161
	s_delay_alu instid0(VALU_DEP_3) | instskip(NEXT) | instid1(VALU_DEP_3)
	v_add_f16_e64 v61, v192, v61
	v_fma_f16 v187, v49, v17, -v45
	v_mul_f16_e64 v45, v168, v164
	s_delay_alu instid0(VALU_DEP_4) | instskip(SKIP_1) | instid1(VALU_DEP_4)
	v_fmac_f16_e64 v190, v169, v17
	v_lshrrev_b32_e32 v169, 16, v12
	v_sub_f16_e64 v217, v188, v187
	s_delay_alu instid0(VALU_DEP_4)
	v_fma_f16 v186, v50, v18, -v45
	v_mul_f16_e64 v45, v62, v166
	v_mul_f16_e64 v50, v50, v164
	v_sub_f16_e64 v220, v189, v190
	v_add_f16_e64 v203, v189, v190
	v_sub_f16_e64 v215, v53, v186
	v_fma_f16 v49, v47, v19, -v45
	v_mul_f16_e64 v45, v59, v167
	v_fmac_f16_e64 v50, v168, v18
	v_lshrrev_b32_e32 v168, 16, v40
	v_mul_f16_e64 v47, v47, v166
	v_sub_f16_e64 v213, v54, v49
	v_fma_f16 v46, v48, v39, -v45
	v_mul_f16_e64 v45, v48, v167
	v_fma_f16 v48, v200, 0x3abb, -v182
	v_fmac_f16_e32 v47, v62, v19
	v_mul_f16_e64 v211, 0x3482, v213
	v_sub_f16_e64 v210, v184, v46
	v_fmac_f16_e32 v45, v59, v39
	v_add_f16_e64 v48, v202, v48
	v_fma_f16 v59, v233, 0xbbad, -v195
	v_sub_f16_e64 v218, v56, v47
	v_mul_f16_e64 v207, 0xba0c, v210
	v_sub_f16_e64 v216, v185, v45
	v_add_f16_e32 v48, v57, v48
	v_fma_f16 v57, v225, 0xb93d, -v196
	v_add_f16_e64 v198, v56, v47
	v_mul_f16_e64 v205, 0x3482, v218
	v_mul_f16_e64 v204, 0xba0c, v216
	v_add_f16_e32 v48, v60, v48
	v_add_f16_e64 v60, v193, v61
	v_mul_f16_e64 v193, 0xbbeb, v218
	v_sub_f16_e64 v219, v191, v50
	v_add_f16_e64 v196, v53, v186
	v_add_f16_e32 v57, v57, v48
	v_mul_f16_e64 v48, v52, v168
	v_add_f16_e64 v183, v199, v60
	v_mul_f16_e64 v199, 0xbbeb, v213
	v_add_f16_e64 v201, v191, v50
	v_add_f16_e64 v214, v59, v57
	v_fma_f16 v48, v51, v40, -v48
	v_mul_f16_e64 v51, v51, v168
	v_mul_f16_e64 v57, v44, v169
	;; [unrolled: 1-line block ×5, first 2 shown]
	v_fmac_f16_e32 v51, v52, v40
	v_fmac_f16_e32 v57, v58, v12
	v_mul_f16_e64 v52, v58, v169
	v_mul_f16_e64 v202, 0xb482, v217
	s_delay_alu instid0(VALU_DEP_3) | instskip(NEXT) | instid1(VALU_DEP_3)
	v_sub_f16_e64 v224, v57, v51
	v_fma_f16 v221, v44, v12, -v52
	v_mul_f16_e64 v52, 0xbb47, v216
	v_add_f16_e32 v60, v57, v51
	s_delay_alu instid0(VALU_DEP_4) | instskip(NEXT) | instid1(VALU_DEP_4)
	v_mul_f16_e64 v222, 0xb853, v224
	v_add_f16_e64 v223, v221, v48
	v_sub_f16_e64 v209, v221, v48
	v_mul_f16_e64 v225, 0xbb47, v224
	s_delay_alu instid0(VALU_DEP_3) | instskip(NEXT) | instid1(VALU_DEP_3)
	v_fma_f16 v44, 0x3abb, v223, v222
	v_mul_f16_e64 v61, 0xb853, v209
	v_mul_f16_e64 v208, 0xbb47, v209
	s_delay_alu instid0(VALU_DEP_3) | instskip(SKIP_1) | instid1(VALU_DEP_1)
	v_add_f16_e32 v58, v43, v44
	v_add_f16_e64 v44, v184, v46
	v_fmamk_f16 v59, v44, 0x36a6, v52
	v_fma_f16 v182, 0xb93d, v44, v204
	s_delay_alu instid0(VALU_DEP_2) | instskip(SKIP_2) | instid1(VALU_DEP_2)
	v_add_f16_e32 v62, v59, v58
	v_fma_f16 v58, v60, 0x3abb, -v61
	v_mul_f16_e64 v59, 0xbb47, v210
	v_add_f16_e64 v180, v55, v58
	v_add_f16_e64 v58, v185, v45
	s_delay_alu instid0(VALU_DEP_1) | instskip(SKIP_1) | instid1(VALU_DEP_2)
	v_fma_f16 v181, v58, 0x36a6, -v59
	v_fma_f16 v192, v58, 0xb93d, -v207
	v_add_f16_e64 v180, v181, v180
	v_fma_f16 v181, 0x36a6, v223, v225
	s_delay_alu instid0(VALU_DEP_1) | instskip(NEXT) | instid1(VALU_DEP_1)
	v_add_f16_e64 v181, v43, v181
	v_add_f16_e64 v181, v182, v181
	v_fma_f16 v182, v60, 0x36a6, -v208
	s_delay_alu instid0(VALU_DEP_1) | instskip(NEXT) | instid1(VALU_DEP_1)
	v_add_f16_e64 v182, v55, v182
	v_add_f16_e64 v182, v192, v182
	;; [unrolled: 1-line block ×3, first 2 shown]
	s_delay_alu instid0(VALU_DEP_1) | instskip(NEXT) | instid1(VALU_DEP_1)
	v_fma_f16 v194, 0xb08e, v192, v193
	v_add_f16_e64 v62, v194, v62
	v_fma_f16 v194, v198, 0xb08e, -v199
	s_delay_alu instid0(VALU_DEP_1) | instskip(SKIP_1) | instid1(VALU_DEP_1)
	v_add_f16_e64 v180, v194, v180
	v_fma_f16 v194, 0xbbad, v192, v205
	v_add_f16_e64 v181, v194, v181
	v_fma_f16 v194, v198, 0xbbad, -v211
	s_delay_alu instid0(VALU_DEP_1) | instskip(SKIP_1) | instid1(VALU_DEP_1)
	v_add_f16_e64 v182, v194, v182
	v_mul_f16_e64 v194, 0xba0c, v219
	v_fma_f16 v195, 0xb93d, v196, v194
	s_delay_alu instid0(VALU_DEP_1) | instskip(SKIP_2) | instid1(VALU_DEP_2)
	v_add_f16_e64 v197, v195, v62
	v_fma_f16 v62, v201, 0xb93d, -v200
	v_mul_f16_e64 v195, 0xb482, v220
	v_add_f16_e64 v180, v62, v180
	v_fma_f16 v62, 0xb08e, v196, v206
	s_delay_alu instid0(VALU_DEP_1) | instskip(SKIP_1) | instid1(VALU_DEP_1)
	v_add_f16_e64 v226, v62, v181
	v_fma_f16 v62, v201, 0xb08e, -v212
	v_add_f16_e64 v227, v62, v182
	v_add_f16_e64 v62, v188, v187
	v_fma_f16 v182, v203, 0xbbad, -v202
	s_delay_alu instid0(VALU_DEP_2) | instskip(NEXT) | instid1(VALU_DEP_2)
	v_fma_f16 v181, 0xbbad, v62, v195
	v_add_f16_e64 v182, v182, v180
	s_delay_alu instid0(VALU_DEP_2) | instskip(SKIP_1) | instid1(VALU_DEP_1)
	v_add_f16_e64 v181, v181, v197
	v_mul_f16_e64 v197, 0x3853, v220
	v_fma_f16 v180, 0x3abb, v62, v197
	s_delay_alu instid0(VALU_DEP_1) | instskip(SKIP_4) | instid1(VALU_DEP_1)
	v_add_f16_e64 v180, v180, v226
	v_pack_b32_f16 v226, v183, v214
	v_mul_f16_e64 v214, 0x3853, v217
	ds_store_b32 v63, v226 offset:3360
	v_fma_f16 v183, v203, 0x3abb, -v214
	v_add_f16_e64 v183, v183, v227
	s_and_saveexec_b32 s1, s0
	s_cbranch_execz .LBB0_15
; %bb.14:
	v_mul_f16_e64 v226, 0x36a6, v223
	v_mul_f16_e64 v227, 0xba0c, v224
	v_add_f16_e64 v221, v43, v221
	v_mul_f16_e64 v231, 0xbbad, v58
	v_mul_f16_e64 v240, 0xb08e, v58
	v_sub_f16_e64 v225, v226, v225
	v_mul_f16_e64 v226, 0xb482, v224
	v_mul_f16_e64 v224, 0xbbeb, v224
	v_fma_f16 v229, 0xb93d, v223, v227
	v_fma_f16 v227, v223, 0xb93d, -v227
	v_add_f16_e64 v225, v43, v225
	v_fma_f16 v228, 0xbbad, v223, v226
	v_fma_f16 v226, v223, 0xbbad, -v226
	v_fma_f16 v230, 0xb08e, v223, v224
	v_fma_f16 v224, v223, 0xb08e, -v224
	v_mul_f16_e64 v223, 0x3abb, v223
	v_add_f16_e64 v229, v43, v229
	v_add_f16_e64 v228, v43, v228
	;; [unrolled: 1-line block ×4, first 2 shown]
	v_sub_f16_e64 v222, v223, v222
	v_add_f16_e64 v223, v43, v230
	v_add_f16_e64 v224, v43, v224
	v_fma_f16 v232, 0xb482, v210, v231
	v_fma_f16 v241, 0xbbeb, v210, v240
	v_add_f16_e64 v43, v43, v222
	v_mul_f16_e64 v222, 0xb08e, v60
	v_mul_f16_e64 v250, 0x3abb, v58
	v_fmac_f16_e64 v240, 0x3beb, v210
	v_fmac_f16_e64 v231, 0x3482, v210
	v_add_f16_e32 v57, v55, v57
	v_fma_f16 v230, 0x3beb, v209, v222
	v_fma_f16 v251, 0xb853, v210, v250
	v_fmac_f16_e64 v250, 0x3853, v210
	v_fmac_f16_e64 v222, 0xbbeb, v209
	v_add_f16_e64 v184, v221, v184
	v_add_f16_e64 v230, v55, v230
	;; [unrolled: 1-line block ×3, first 2 shown]
	s_delay_alu instid0(VALU_DEP_3) | instskip(NEXT) | instid1(VALU_DEP_3)
	v_add_f16_e64 v54, v184, v54
	v_add_f16_e64 v230, v232, v230
	v_mul_f16_e64 v232, 0x36a6, v198
	s_delay_alu instid0(VALU_DEP_4) | instskip(SKIP_2) | instid1(VALU_DEP_4)
	v_add_f16_e32 v56, v57, v56
	v_mul_f16_e32 v57, 0x3abb, v60
	v_add_f16_e32 v53, v54, v53
	v_fma_f16 v233, 0xbb47, v213, v232
	v_fmac_f16_e64 v232, 0x3b47, v213
	s_delay_alu instid0(VALU_DEP_4)
	v_add_f16_e32 v57, v61, v57
	v_add_f16_e64 v54, v56, v191
	v_mul_f16_e32 v56, 0x36a6, v58
	v_add_f16_e64 v230, v233, v230
	v_mul_f16_e64 v233, 0x3abb, v201
	v_add_f16_e64 v53, v53, v188
	v_add_f16_e64 v54, v54, v189
	v_add_f16_e32 v56, v59, v56
	s_delay_alu instid0(VALU_DEP_4) | instskip(SKIP_1) | instid1(VALU_DEP_4)
	v_fma_f16 v234, 0x3853, v215, v233
	v_fmac_f16_e64 v233, 0xb853, v215
	v_add_f16_e64 v54, v54, v190
	v_add_f16_e64 v53, v53, v187
	s_delay_alu instid0(VALU_DEP_4) | instskip(SKIP_1) | instid1(VALU_DEP_4)
	v_add_f16_e64 v230, v234, v230
	v_mul_f16_e64 v234, 0x3482, v216
	v_add_f16_e32 v50, v54, v50
	v_mul_f16_e64 v54, 0xb93d, v201
	v_add_f16_e64 v53, v53, v186
	s_delay_alu instid0(VALU_DEP_4) | instskip(NEXT) | instid1(VALU_DEP_4)
	v_fma_f16 v235, 0xbbad, v44, v234
	v_add_f16_e32 v47, v50, v47
	s_delay_alu instid0(VALU_DEP_4) | instskip(NEXT) | instid1(VALU_DEP_4)
	v_add_f16_e64 v54, v200, v54
	v_add_f16_e32 v49, v53, v49
	s_delay_alu instid0(VALU_DEP_4) | instskip(SKIP_2) | instid1(VALU_DEP_4)
	v_add_f16_e64 v223, v235, v223
	v_mul_f16_e64 v235, 0xb93d, v203
	v_add_f16_e32 v45, v47, v45
	v_add_f16_e32 v46, v49, v46
	v_mul_f16_e32 v49, 0x3abb, v62
	s_delay_alu instid0(VALU_DEP_4) | instskip(SKIP_1) | instid1(VALU_DEP_4)
	v_fma_f16 v236, 0x3a0c, v217, v235
	v_fmac_f16_e64 v235, 0xba0c, v217
	v_add_f16_e32 v46, v46, v48
	v_add_f16_e32 v45, v45, v51
	v_add_nc_u32_e32 v51, 0x800, v63
	v_add_f16_e64 v230, v236, v230
	v_mul_f16_e64 v236, 0x3b47, v218
	s_delay_alu instid0(VALU_DEP_4) | instskip(NEXT) | instid1(VALU_DEP_2)
	v_pack_b32_f16 v45, v46, v45
	v_fma_f16 v237, 0x36a6, v192, v236
	s_delay_alu instid0(VALU_DEP_1) | instskip(SKIP_1) | instid1(VALU_DEP_1)
	v_add_f16_e64 v223, v237, v223
	v_mul_f16_e64 v237, 0xb853, v219
	v_fma_f16 v238, 0x3abb, v196, v237
	s_delay_alu instid0(VALU_DEP_1) | instskip(SKIP_1) | instid1(VALU_DEP_1)
	v_add_f16_e64 v223, v238, v223
	v_mul_f16_e64 v238, 0xb93d, v60
	v_fma_f16 v239, 0x3a0c, v209, v238
	v_fmac_f16_e64 v238, 0xba0c, v209
	s_delay_alu instid0(VALU_DEP_2) | instskip(NEXT) | instid1(VALU_DEP_1)
	v_add_f16_e64 v239, v55, v239
	v_add_f16_e64 v239, v241, v239
	v_mul_f16_e64 v241, 0xba0c, v220
	s_delay_alu instid0(VALU_DEP_1) | instskip(SKIP_1) | instid1(VALU_DEP_2)
	v_fma_f16 v242, 0xb93d, v62, v241
	v_fma_f16 v48, v62, 0xb93d, -v241
	v_add_f16_e64 v223, v242, v223
	v_mul_f16_e64 v242, 0x3abb, v198
	s_delay_alu instid0(VALU_DEP_1) | instskip(SKIP_1) | instid1(VALU_DEP_2)
	v_fma_f16 v243, 0x3853, v213, v242
	v_fmac_f16_e64 v242, 0xb853, v213
	v_add_f16_e64 v239, v243, v239
	v_mul_f16_e64 v243, 0xbbad, v201
	s_delay_alu instid0(VALU_DEP_1) | instskip(SKIP_1) | instid1(VALU_DEP_2)
	v_fma_f16 v244, 0x3482, v215, v243
	v_fmac_f16_e64 v243, 0xb482, v215
	v_add_f16_e64 v239, v244, v239
	v_mul_f16_e64 v244, 0x3beb, v216
	v_mul_f16_e64 v216, 0x3853, v216
	s_delay_alu instid0(VALU_DEP_2) | instskip(NEXT) | instid1(VALU_DEP_1)
	v_fma_f16 v245, 0xb08e, v44, v244
	v_add_f16_e64 v229, v245, v229
	v_mul_f16_e64 v245, 0x36a6, v203
	s_delay_alu instid0(VALU_DEP_1) | instskip(SKIP_1) | instid1(VALU_DEP_2)
	v_fma_f16 v246, 0xbb47, v217, v245
	v_fmac_f16_e64 v245, 0x3b47, v217
	v_add_f16_e64 v239, v246, v239
	v_mul_f16_e64 v246, 0xb853, v218
	v_mul_f16_e64 v218, 0xba0c, v218
	s_delay_alu instid0(VALU_DEP_2) | instskip(NEXT) | instid1(VALU_DEP_1)
	v_fma_f16 v247, 0x3abb, v192, v246
	v_add_f16_e64 v229, v247, v229
	v_mul_f16_e64 v247, 0xb482, v219
	v_mul_f16_e64 v219, 0x3b47, v219
	s_delay_alu instid0(VALU_DEP_2) | instskip(NEXT) | instid1(VALU_DEP_1)
	v_fma_f16 v248, 0xbbad, v196, v247
	v_add_f16_e64 v229, v248, v229
	v_mul_f16_e64 v248, 0xbbad, v60
	s_delay_alu instid0(VALU_DEP_1) | instskip(SKIP_2) | instid1(VALU_DEP_3)
	v_fma_f16 v249, 0x3482, v209, v248
	v_fmac_f16_e64 v248, 0xb482, v209
	v_fma_f16 v209, v44, 0xb08e, -v244
	v_add_f16_e64 v249, v55, v249
	s_delay_alu instid0(VALU_DEP_3) | instskip(NEXT) | instid1(VALU_DEP_3)
	v_add_f16_e64 v248, v55, v248
	v_add_f16_e64 v209, v209, v227
	s_delay_alu instid0(VALU_DEP_3) | instskip(SKIP_1) | instid1(VALU_DEP_4)
	v_add_f16_e64 v249, v251, v249
	v_mul_f16_e64 v251, 0x3b47, v220
	v_add_f16_e64 v248, v250, v248
	v_fma_f16 v250, 0x36a6, v196, v219
	v_fma_f16 v219, v196, 0x36a6, -v219
	v_mul_f16_e64 v220, 0xbbeb, v220
	v_fma_f16 v252, 0x36a6, v62, v251
	v_fma_f16 v53, v62, 0x36a6, -v251
	s_delay_alu instid0(VALU_DEP_2) | instskip(SKIP_1) | instid1(VALU_DEP_1)
	v_add_f16_e64 v229, v252, v229
	v_mul_f16_e64 v252, 0xb93d, v198
	v_fma_f16 v253, 0x3a0c, v213, v252
	v_fmac_f16_e64 v252, 0xba0c, v213
	v_fma_f16 v213, v196, 0xbbad, -v247
	s_delay_alu instid0(VALU_DEP_3) | instskip(SKIP_1) | instid1(VALU_DEP_4)
	v_add_f16_e64 v249, v253, v249
	v_mul_f16_e64 v253, 0x36a6, v201
	v_add_f16_e64 v248, v252, v248
	s_delay_alu instid0(VALU_DEP_2) | instskip(SKIP_3) | instid1(VALU_DEP_4)
	v_fma_f16 v254, 0xbb47, v215, v253
	v_fmac_f16_e64 v253, 0x3b47, v215
	v_mul_f16_e64 v215, 0x36a6, v60
	v_mul_f16_e64 v60, 0xb08e, v196
	v_add_f16_e64 v249, v254, v249
	v_fma_f16 v254, 0x3abb, v44, v216
	v_fma_f16 v216, v44, 0x3abb, -v216
	v_add_f16_e64 v208, v208, v215
	v_fma_f16 v215, v44, 0xbbad, -v234
	v_sub_f16_e64 v60, v60, v206
	v_add_f16_e64 v228, v254, v228
	v_mul_f16_e64 v254, 0xb08e, v203
	v_add_f16_e64 v216, v216, v226
	v_add_f16_e64 v226, v253, v248
	;; [unrolled: 1-line block ×4, first 2 shown]
	v_fma_f16 v255, 0x3beb, v217, v254
	v_fmac_f16_e64 v254, 0xbbeb, v217
	v_fma_f16 v217, v192, 0x36a6, -v236
	s_delay_alu instid0(VALU_DEP_3) | instskip(SKIP_2) | instid1(VALU_DEP_4)
	v_add_f16_e64 v249, v255, v249
	v_fma_f16 v255, 0xb93d, v192, v218
	v_fma_f16 v218, v192, 0xb93d, -v218
	v_add_f16_e64 v215, v217, v215
	s_delay_alu instid0(VALU_DEP_3) | instskip(NEXT) | instid1(VALU_DEP_3)
	v_add_f16_e64 v228, v255, v228
	v_add_f16_e64 v216, v218, v216
	;; [unrolled: 1-line block ×4, first 2 shown]
	s_delay_alu instid0(VALU_DEP_4) | instskip(NEXT) | instid1(VALU_DEP_4)
	v_add_f16_e64 v228, v250, v228
	v_add_f16_e64 v216, v219, v216
	v_fma_f16 v250, 0xb08e, v62, v220
	s_delay_alu instid0(VALU_DEP_4) | instskip(SKIP_1) | instid1(VALU_DEP_3)
	v_add_f16_e64 v226, v240, v226
	v_fma_f16 v220, v62, 0xb08e, -v220
	v_add_f16_e64 v228, v250, v228
	s_delay_alu instid0(VALU_DEP_3) | instskip(NEXT) | instid1(VALU_DEP_3)
	v_add_f16_e64 v219, v242, v226
	v_add_f16_e64 v216, v220, v216
	s_delay_alu instid0(VALU_DEP_2) | instskip(SKIP_1) | instid1(VALU_DEP_1)
	v_add_f16_e64 v210, v243, v219
	v_fma_f16 v219, v192, 0x3abb, -v246
	v_add_f16_e64 v209, v219, v209
	v_add_f16_e64 v219, v55, v222
	v_add_f16_e32 v55, v55, v57
	s_delay_alu instid0(VALU_DEP_3) | instskip(NEXT) | instid1(VALU_DEP_3)
	v_add_f16_e64 v209, v213, v209
	v_add_f16_e64 v219, v231, v219
	s_delay_alu instid0(VALU_DEP_1) | instskip(SKIP_1) | instid1(VALU_DEP_2)
	v_add_f16_e64 v213, v232, v219
	v_mul_f16_e64 v219, 0xb93d, v58
	v_add_f16_e64 v213, v233, v213
	s_delay_alu instid0(VALU_DEP_2) | instskip(NEXT) | instid1(VALU_DEP_1)
	v_add_f16_e64 v207, v207, v219
	v_add_f16_e64 v207, v207, v208
	v_mul_f16_e64 v208, 0xbbad, v198
	s_delay_alu instid0(VALU_DEP_1) | instskip(SKIP_2) | instid1(VALU_DEP_3)
	v_add_f16_e64 v208, v211, v208
	v_add_f16_e64 v211, v235, v213
	v_fma_f16 v213, v196, 0x3abb, -v237
	v_add_f16_e64 v207, v208, v207
	v_mul_f16_e64 v208, 0xb08e, v201
	s_delay_alu instid0(VALU_DEP_3) | instskip(SKIP_2) | instid1(VALU_DEP_4)
	v_add_f16_e64 v213, v213, v215
	v_mul_f16_e64 v215, 0xb93d, v44
	v_mul_f16_e32 v44, 0x36a6, v44
	v_add_f16_e64 v208, v212, v208
	v_mul_f16_e64 v212, 0xbbad, v192
	s_delay_alu instid0(VALU_DEP_4) | instskip(NEXT) | instid1(VALU_DEP_4)
	v_sub_f16_e64 v204, v215, v204
	v_sub_f16_e32 v44, v44, v52
	v_add_f16_e32 v52, v56, v55
	v_mul_f16_e64 v55, 0xb08e, v198
	v_sub_f16_e64 v205, v212, v205
	v_add_f16_e64 v204, v204, v225
	v_add_f16_e32 v43, v44, v43
	v_mul_f16_e64 v44, 0xb08e, v192
	v_add_f16_e64 v55, v199, v55
	v_add_f16_e64 v185, v208, v207
	v_mul_f16_e64 v207, 0x3abb, v203
	v_add_f16_e64 v204, v205, v204
	v_sub_f16_e64 v44, v44, v193
	v_add_f16_e32 v52, v55, v52
	v_mul_f16_e64 v55, 0xb93d, v196
	v_add_f16_e64 v207, v214, v207
	v_add_f16_e64 v46, v48, v213
	v_add_f16_e32 v43, v44, v43
	v_mul_f16_e64 v44, 0xbbad, v203
	v_sub_f16_e64 v55, v55, v194
	v_add_f16_e32 v50, v54, v52
	v_mul_f16_e32 v52, 0xbbad, v62
	v_add_f16_e64 v48, v53, v209
	v_add_f16_e64 v44, v202, v44
	v_add_f16_e32 v43, v55, v43
	v_perm_b32 v53, v183, v180, 0x5040100
	v_sub_f16_e64 v47, v52, v195
	v_add_f16_e64 v52, v60, v204
	v_add_f16_e32 v44, v44, v50
	v_pack_b32_f16 v50, v229, v239
	v_add_nc_u32_e32 v54, 0xa00, v63
	v_add_f16_e32 v43, v47, v43
	v_sub_f16_e64 v47, v49, v197
	v_add_f16_e64 v49, v207, v185
	v_perm_b32 v55, v182, v181, 0x5040100
	s_delay_alu instid0(VALU_DEP_4) | instskip(NEXT) | instid1(VALU_DEP_4)
	v_pack_b32_f16 v43, v43, v44
	v_add_f16_e32 v44, v47, v52
	v_add_f16_e64 v47, v245, v210
	v_pack_b32_f16 v52, v223, v230
	ds_store_2addr_b32 v63, v45, v43 offset0:44 offset1:128
	v_pack_b32_f16 v43, v44, v49
	v_pack_b32_f16 v44, v46, v211
	v_add_nc_u32_e32 v45, 0x200, v63
	v_pack_b32_f16 v46, v48, v47
	v_pack_b32_f16 v47, v216, v218
	v_add_nc_u32_e32 v48, 0x400, v63
	v_pack_b32_f16 v49, v228, v249
	ds_store_2addr_b32 v45, v43, v44 offset0:84 offset1:168
	ds_store_2addr_b32 v48, v46, v47 offset0:124 offset1:208
	;; [unrolled: 1-line block ×4, first 2 shown]
	ds_store_b32 v63, v55 offset:3536
.LBB0_15:
	s_wait_alu 0xfffe
	s_or_b32 exec_lo, exec_lo, s1
	global_wb scope:SCOPE_SE
	s_wait_dscnt 0x0
	s_barrier_signal -1
	s_barrier_wait -1
	global_inv scope:SCOPE_SE
	global_load_b32 v43, v[28:29], off offset:3696
	s_add_nc_u64 s[2:3], s[16:17], 0xe70
	s_clause 0x12
	global_load_b32 v50, v63, s[2:3] offset:176
	global_load_b32 v54, v63, s[2:3] offset:1848
	;; [unrolled: 1-line block ×19, first 2 shown]
	ds_load_2addr_b32 v[44:45], v63 offset1:44
	s_wait_dscnt 0x0
	v_lshrrev_b32_e32 v46, 16, v44
	v_lshrrev_b32_e32 v51, 16, v45
	s_wait_loadcnt 0x12
	v_lshrrev_b32_e32 v52, 16, v50
	s_wait_loadcnt 0x11
	v_lshrrev_b32_e32 v53, 16, v54
	s_wait_loadcnt 0x10
	v_lshrrev_b32_e32 v193, 16, v55
	s_wait_loadcnt 0xf
	v_lshrrev_b32_e32 v194, 16, v56
	s_wait_loadcnt 0xe
	v_lshrrev_b32_e32 v195, 16, v57
	v_mul_f16_e64 v197, v51, v52
	v_mul_f16_e64 v201, v45, v52
	s_wait_loadcnt 0xd
	v_lshrrev_b32_e32 v196, 16, v58
	s_wait_loadcnt 0xc
	v_lshrrev_b32_e32 v198, 16, v59
	s_wait_loadcnt 0xb
	v_lshrrev_b32_e32 v199, 16, v60
	v_fma_f16 v197, v45, v50, -v197
	v_fmac_f16_e64 v201, v51, v50
	s_wait_loadcnt 0xa
	v_lshrrev_b32_e32 v200, 16, v61
	v_lshrrev_b32_e32 v47, 16, v43
	s_delay_alu instid0(VALU_DEP_1) | instskip(SKIP_1) | instid1(VALU_DEP_2)
	v_mul_f16_e32 v48, v46, v47
	v_mul_f16_e32 v47, v44, v47
	v_fma_f16 v44, v44, v43, -v48
	s_delay_alu instid0(VALU_DEP_2) | instskip(SKIP_1) | instid1(VALU_DEP_2)
	v_fmac_f16_e32 v47, v46, v43
	v_add_nc_u32_e32 v43, 0x400, v63
	v_pack_b32_f16 v44, v44, v47
	ds_store_b32 v63, v44
	ds_load_2addr_b32 v[46:47], v43 offset0:206 offset1:250
	ds_load_2addr_b32 v[48:49], v63 offset0:88 offset1:132
	v_add_nc_u32_e32 v44, 0x800, v63
	ds_load_2addr_b32 v[50:51], v44 offset0:38 offset1:82
	s_wait_dscnt 0x2
	v_lshrrev_b32_e32 v45, 16, v46
	v_mul_f16_e64 v202, v46, v53
	v_lshrrev_b32_e32 v203, 16, v47
	s_wait_dscnt 0x1
	v_mul_f16_e64 v205, v48, v194
	v_mul_f16_e64 v204, v45, v53
	v_fmac_f16_e64 v202, v45, v54
	v_mul_f16_e64 v45, v203, v193
	ds_load_2addr_b32 v[52:53], v63 offset0:176 offset1:220
	v_mul_f16_e64 v193, v47, v193
	v_fma_f16 v54, v46, v54, -v204
	v_lshrrev_b32_e32 v46, 16, v48
	v_fma_f16 v204, v47, v55, -v45
	v_lshrrev_b32_e32 v47, 16, v49
	v_fmac_f16_e64 v193, v203, v55
	s_wait_loadcnt 0x9
	v_lshrrev_b32_e32 v55, 16, v62
	v_mul_f16_e64 v45, v46, v194
	v_fmac_f16_e64 v205, v46, v56
	v_mul_f16_e64 v194, v47, v196
	v_mul_f16_e64 v196, v49, v196
	v_pack_b32_f16 v193, v204, v193
	v_fma_f16 v56, v48, v56, -v45
	ds_load_2addr_b32 v[45:46], v44 offset0:126 offset1:170
	v_fma_f16 v49, v49, v58, -v194
	s_wait_dscnt 0x2
	v_lshrrev_b32_e32 v48, 16, v50
	v_mul_f16_e64 v194, v50, v195
	v_fmac_f16_e64 v196, v47, v58
	v_lshrrev_b32_e32 v47, 16, v51
	v_mul_f16_e64 v58, v51, v198
	v_mul_f16_e64 v195, v48, v195
	v_fmac_f16_e64 v194, v48, v57
	s_wait_dscnt 0x1
	v_lshrrev_b32_e32 v203, 16, v52
	v_mul_f16_e64 v48, v47, v198
	v_fmac_f16_e32 v58, v47, v59
	v_fma_f16 v50, v50, v57, -v195
	v_lshrrev_b32_e32 v57, 16, v53
	v_mul_f16_e64 v198, v52, v199
	v_fma_f16 v51, v51, v59, -v48
	ds_load_2addr_b32 v[47:48], v43 offset0:8 offset1:52
	v_mul_f16_e64 v59, v203, v199
	v_mul_f16_e64 v195, v57, v200
	v_fmac_f16_e64 v198, v203, v60
	s_wait_loadcnt 0x8
	v_lshrrev_b32_e32 v199, 16, v184
	v_mul_f16_e64 v200, v53, v200
	v_fma_f16 v52, v52, v60, -v59
	s_wait_dscnt 0x1
	v_lshrrev_b32_e32 v59, 16, v45
	v_fma_f16 v60, v53, v61, -v195
	v_lshrrev_b32_e32 v195, 16, v46
	v_mul_f16_e64 v203, v45, v55
	v_fmac_f16_e64 v200, v57, v61
	v_add_nc_u32_e32 v53, 0xa00, v63
	v_mul_f16_e32 v55, v59, v55
	v_mul_f16_e64 v57, v195, v199
	v_fmac_f16_e64 v203, v59, v62
	s_wait_loadcnt 0x7
	v_lshrrev_b32_e32 v59, 16, v185
	v_mul_f16_e64 v61, v46, v199
	v_fma_f16 v62, v45, v62, -v55
	v_fma_f16 v57, v46, v184, -v57
	ds_load_2addr_b32 v[45:46], v53 offset0:86 offset1:130
	s_wait_dscnt 0x1
	v_lshrrev_b32_e32 v55, 16, v47
	v_fmac_f16_e64 v61, v195, v184
	v_mul_f16_e64 v184, v47, v59
	s_wait_loadcnt 0x6
	v_lshrrev_b32_e32 v195, 16, v186
	v_pack_b32_f16 v56, v56, v205
	v_mul_f16_e32 v59, v55, v59
	v_pack_b32_f16 v50, v50, v194
	v_fmac_f16_e64 v184, v55, v185
	v_lshrrev_b32_e32 v55, 16, v48
	v_pack_b32_f16 v49, v49, v196
	v_fma_f16 v47, v47, v185, -v59
	v_mul_f16_e64 v185, v48, v195
	v_pack_b32_f16 v52, v52, v198
	v_mul_f16_e64 v59, v55, v195
	v_pack_b32_f16 v51, v51, v58
	v_pack_b32_f16 v58, v62, v203
	v_fmac_f16_e64 v185, v55, v186
	s_wait_loadcnt 0x4
	v_lshrrev_b32_e32 v55, 16, v188
	v_fma_f16 v48, v48, v186, -v59
	v_lshrrev_b32_e32 v59, 16, v187
	s_wait_dscnt 0x0
	v_lshrrev_b32_e32 v195, 16, v45
	v_pack_b32_f16 v60, v60, v200
	v_pack_b32_f16 v47, v47, v184
	;; [unrolled: 1-line block ×3, first 2 shown]
	v_mul_f16_e64 v186, v45, v59
	v_mul_f16_e64 v59, v195, v59
	v_pack_b32_f16 v57, v57, v61
	v_pack_b32_f16 v48, v48, v185
	s_delay_alu instid0(VALU_DEP_4) | instskip(SKIP_3) | instid1(VALU_DEP_3)
	v_fmac_f16_e64 v186, v195, v187
	v_lshrrev_b32_e32 v195, 16, v46
	v_fma_f16 v59, v45, v187, -v59
	v_mul_f16_e64 v187, v46, v55
	v_mul_f16_e64 v45, v195, v55
	s_wait_loadcnt 0x3
	v_lshrrev_b32_e32 v55, 16, v189
	s_delay_alu instid0(VALU_DEP_3)
	v_fmac_f16_e64 v187, v195, v188
	v_pack_b32_f16 v59, v59, v186
	v_fma_f16 v199, v46, v188, -v45
	ds_load_2addr_b32 v[45:46], v43 offset0:96 offset1:140
	v_pack_b32_f16 v61, v199, v187
	s_wait_dscnt 0x0
	v_lshrrev_b32_e32 v188, 16, v45
	v_mul_f16_e64 v195, v45, v55
	s_delay_alu instid0(VALU_DEP_2) | instskip(NEXT) | instid1(VALU_DEP_2)
	v_mul_f16_e64 v55, v188, v55
	v_fmac_f16_e64 v195, v188, v189
	s_delay_alu instid0(VALU_DEP_2) | instskip(SKIP_3) | instid1(VALU_DEP_3)
	v_fma_f16 v188, v45, v189, -v55
	s_wait_loadcnt 0x2
	v_lshrrev_b32_e32 v45, 16, v190
	v_lshrrev_b32_e32 v55, 16, v46
	v_pack_b32_f16 v62, v188, v195
	s_delay_alu instid0(VALU_DEP_3) | instskip(NEXT) | instid1(VALU_DEP_3)
	v_mul_f16_e64 v206, v46, v45
	v_mul_f16_e64 v189, v55, v45
	s_delay_alu instid0(VALU_DEP_2) | instskip(SKIP_1) | instid1(VALU_DEP_3)
	v_fmac_f16_e64 v206, v55, v190
	v_add_nc_u32_e32 v55, 0xc00, v63
	v_fma_f16 v189, v46, v190, -v189
	s_wait_loadcnt 0x1
	v_lshrrev_b32_e32 v190, 16, v191
	ds_load_2addr_b32 v[45:46], v55 offset0:46 offset1:90
	v_pack_b32_f16 v184, v189, v206
	s_wait_dscnt 0x0
	v_lshrrev_b32_e32 v207, 16, v45
	v_mul_f16_e64 v208, v45, v190
	s_delay_alu instid0(VALU_DEP_2) | instskip(NEXT) | instid1(VALU_DEP_2)
	v_mul_f16_e64 v190, v207, v190
	v_fmac_f16_e64 v208, v207, v191
	s_delay_alu instid0(VALU_DEP_2) | instskip(SKIP_3) | instid1(VALU_DEP_3)
	v_fma_f16 v45, v45, v191, -v190
	s_wait_loadcnt 0x0
	v_lshrrev_b32_e32 v190, 16, v192
	v_lshrrev_b32_e32 v191, 16, v46
	v_pack_b32_f16 v45, v45, v208
	s_delay_alu instid0(VALU_DEP_2) | instskip(SKIP_1) | instid1(VALU_DEP_2)
	v_mul_f16_e64 v207, v191, v190
	v_mul_f16_e64 v190, v46, v190
	v_fma_f16 v46, v46, v192, -v207
	s_delay_alu instid0(VALU_DEP_2) | instskip(SKIP_3) | instid1(VALU_DEP_4)
	v_fmac_f16_e64 v190, v191, v192
	v_pack_b32_f16 v191, v197, v201
	v_add_nc_u32_e32 v192, 0x600, v63
	v_add_nc_u32_e32 v197, 0x200, v63
	v_pack_b32_f16 v46, v46, v190
	ds_store_2addr_b32 v63, v191, v56 offset0:44 offset1:88
	ds_store_2addr_b32 v192, v193, v50 offset0:122 offset1:166
	;; [unrolled: 1-line block ×9, first 2 shown]
	ds_store_b32 v63, v46 offset:3432
	s_and_saveexec_b32 s1, vcc_lo
	s_cbranch_execz .LBB0_17
; %bb.16:
	s_wait_alu 0xfffe
	v_add_co_u32 v45, s2, s2, v63
	s_wait_alu 0xf1ff
	v_add_co_ci_u32_e64 v46, null, s3, 0, s2
	s_clause 0x1
	global_load_b32 v47, v[45:46], off offset:1760
	global_load_b32 v45, v[45:46], off offset:3608
	ds_load_b32 v46, v63 offset:1760
	ds_load_b32 v48, v63 offset:3608
	s_wait_dscnt 0x1
	v_lshrrev_b32_e32 v49, 16, v46
	s_wait_dscnt 0x0
	v_lshrrev_b32_e32 v51, 16, v48
	s_wait_loadcnt 0x1
	v_lshrrev_b32_e32 v50, 16, v47
	s_wait_loadcnt 0x0
	v_lshrrev_b32_e32 v52, 16, v45
	s_delay_alu instid0(VALU_DEP_2) | instskip(SKIP_1) | instid1(VALU_DEP_3)
	v_mul_f16_e32 v54, v49, v50
	v_mul_f16_e32 v50, v46, v50
	;; [unrolled: 1-line block ×4, first 2 shown]
	s_delay_alu instid0(VALU_DEP_4) | instskip(NEXT) | instid1(VALU_DEP_4)
	v_fma_f16 v46, v46, v47, -v54
	v_fmac_f16_e32 v50, v49, v47
	s_delay_alu instid0(VALU_DEP_4) | instskip(NEXT) | instid1(VALU_DEP_4)
	v_fma_f16 v47, v48, v45, -v56
	v_fmac_f16_e32 v52, v51, v45
	s_delay_alu instid0(VALU_DEP_3) | instskip(NEXT) | instid1(VALU_DEP_2)
	v_pack_b32_f16 v45, v46, v50
	v_pack_b32_f16 v46, v47, v52
	ds_store_b32 v63, v45 offset:1760
	ds_store_b32 v63, v46 offset:3608
.LBB0_17:
	s_wait_alu 0xfffe
	s_or_b32 exec_lo, exec_lo, s1
	global_wb scope:SCOPE_SE
	s_wait_dscnt 0x0
	s_barrier_signal -1
	s_barrier_wait -1
	global_inv scope:SCOPE_SE
	ds_load_2addr_b32 v[51:52], v63 offset1:44
	ds_load_2addr_b32 v[57:58], v43 offset0:206 offset1:250
	ds_load_2addr_b32 v[49:50], v63 offset0:88 offset1:132
	;; [unrolled: 1-line block ×9, first 2 shown]
	v_lshlrev_b32_e32 v185, 2, v126
	v_lshlrev_b32_e32 v186, 2, v127
	;; [unrolled: 1-line block ×3, first 2 shown]
	s_and_saveexec_b32 s1, vcc_lo
	s_cbranch_execz .LBB0_19
; %bb.18:
	ds_load_b32 v180, v63 offset:1760
	ds_load_b32 v181, v63 offset:3608
	s_wait_dscnt 0x1
	v_lshrrev_b32_e32 v183, 16, v180
	s_wait_dscnt 0x0
	v_lshrrev_b32_e32 v182, 16, v181
.LBB0_19:
	s_wait_alu 0xfffe
	s_or_b32 exec_lo, exec_lo, s1
	s_wait_dscnt 0x8
	v_pk_add_f16 v57, v51, v57 neg_lo:[0,1] neg_hi:[0,1]
	v_pk_add_f16 v188, v52, v58 neg_lo:[0,1] neg_hi:[0,1]
	s_wait_dscnt 0x6
	v_pk_add_f16 v59, v49, v59 neg_lo:[0,1] neg_hi:[0,1]
	v_pk_add_f16 v190, v50, v60 neg_lo:[0,1] neg_hi:[0,1]
	;; [unrolled: 3-line block ×3, first 2 shown]
	v_sub_f16_e64 v128, v180, v181
	v_sub_f16_e64 v181, v183, v182
	s_wait_dscnt 0x0
	v_pk_add_f16 v193, v44, v56 neg_lo:[0,1] neg_hi:[0,1]
	v_pk_fma_f16 v56, v51, 2.0, v57 op_sel_hi:[1,0,1] neg_lo:[0,0,1] neg_hi:[0,0,1]
	v_pk_add_f16 v53, v45, v53 neg_lo:[0,1] neg_hi:[0,1]
	v_pk_fma_f16 v187, v52, 2.0, v188 op_sel_hi:[1,0,1] neg_lo:[0,0,1] neg_hi:[0,0,1]
	;; [unrolled: 2-line block ×4, first 2 shown]
	v_pk_fma_f16 v60, v47, 2.0, v61 op_sel_hi:[1,0,1] neg_lo:[0,0,1] neg_hi:[0,0,1]
	v_fma_f16 v126, v180, 2.0, -v128
	v_fma_f16 v127, v183, 2.0, -v181
	global_wb scope:SCOPE_SE
	s_barrier_signal -1
	s_barrier_wait -1
	global_inv scope:SCOPE_SE
	ds_store_b64 v107, v[56:57]
	ds_store_b64 v108, v[187:188]
	;; [unrolled: 1-line block ×5, first 2 shown]
	v_pk_fma_f16 v61, v48, 2.0, v62 op_sel_hi:[1,0,1] neg_lo:[0,0,1] neg_hi:[0,0,1]
	v_pk_fma_f16 v52, v45, 2.0, v53 op_sel_hi:[1,0,1] neg_lo:[0,0,1] neg_hi:[0,0,1]
	;; [unrolled: 1-line block ×5, first 2 shown]
	ds_store_b64 v110, v[61:62]
	ds_store_b64 v113, v[52:53]
	;; [unrolled: 1-line block ×5, first 2 shown]
	s_and_saveexec_b32 s1, vcc_lo
	s_cbranch_execz .LBB0_21
; %bb.20:
	v_perm_b32 v44, v181, v128, 0x5040100
	v_perm_b32 v43, v127, v126, 0x5040100
	ds_store_b64 v115, v[43:44]
.LBB0_21:
	s_wait_alu 0xfffe
	s_or_b32 exec_lo, exec_lo, s1
	v_add_nc_u32_e32 v44, 0x800, v63
	v_add_nc_u32_e32 v43, 0x400, v63
	;; [unrolled: 1-line block ×4, first 2 shown]
	global_wb scope:SCOPE_SE
	s_wait_dscnt 0x0
	s_barrier_signal -1
	s_barrier_wait -1
	global_inv scope:SCOPE_SE
	ds_load_2addr_b32 v[51:52], v63 offset1:44
	ds_load_2addr_b32 v[61:62], v43 offset0:206 offset1:250
	ds_load_2addr_b32 v[49:50], v63 offset0:88 offset1:132
	;; [unrolled: 1-line block ×9, first 2 shown]
	s_and_saveexec_b32 s1, vcc_lo
	s_cbranch_execz .LBB0_23
; %bb.22:
	ds_load_b32 v126, v63 offset:1760
	ds_load_b32 v128, v63 offset:3608
	s_wait_dscnt 0x1
	v_lshrrev_b32_e32 v127, 16, v126
	s_wait_dscnt 0x0
	v_lshrrev_b32_e32 v181, 16, v128
.LBB0_23:
	s_wait_alu 0xfffe
	s_or_b32 exec_lo, exec_lo, s1
	s_wait_dscnt 0x8
	v_lshrrev_b32_e32 v108, 16, v61
	v_lshrrev_b32_e32 v110, 16, v62
	s_wait_dscnt 0x6
	v_lshrrev_b32_e32 v113, 16, v59
	v_lshrrev_b32_e32 v115, 16, v60
	s_wait_dscnt 0x4
	v_lshrrev_b32_e32 v184, 16, v58
	v_mul_f16_e64 v190, v129, v108
	v_mul_f16_e64 v192, v129, v61
	;; [unrolled: 1-line block ×4, first 2 shown]
	v_lshrrev_b32_e32 v182, 16, v57
	v_fmac_f16_e64 v190, v106, v61
	v_mul_f16_e64 v61, v129, v110
	s_wait_dscnt 0x2
	v_lshrrev_b32_e32 v186, 16, v55
	v_fma_f16 v108, v106, v108, -v192
	v_mul_f16_e64 v192, v129, v62
	v_fmac_f16_e64 v195, v106, v59
	v_fmac_f16_e32 v61, v106, v62
	v_mul_f16_e64 v62, v129, v115
	v_fma_f16 v59, v106, v113, -v196
	v_mul_f16_e64 v113, v129, v60
	v_mul_f16_e64 v196, v129, v184
	v_lshrrev_b32_e32 v188, 16, v56
	s_wait_dscnt 0x0
	v_lshrrev_b32_e32 v191, 16, v53
	v_fma_f16 v110, v106, v110, -v192
	v_fmac_f16_e32 v62, v106, v60
	v_mul_f16_e64 v60, v129, v182
	v_mul_f16_e64 v192, v129, v57
	v_fma_f16 v113, v106, v115, -v113
	v_mul_f16_e64 v115, v129, v58
	v_fmac_f16_e64 v196, v106, v58
	v_mul_f16_e64 v58, v129, v186
	v_lshrrev_b32_e32 v194, 16, v54
	v_fmac_f16_e32 v60, v106, v57
	v_fma_f16 v57, v106, v182, -v192
	v_fma_f16 v115, v106, v184, -v115
	v_mul_f16_e64 v182, v129, v55
	v_mul_f16_e64 v184, v129, v188
	;; [unrolled: 1-line block ×3, first 2 shown]
	v_fmac_f16_e32 v58, v106, v55
	v_mul_f16_e64 v55, v129, v191
	v_lshrrev_b32_e32 v107, 16, v51
	v_fma_f16 v182, v106, v186, -v182
	v_fmac_f16_e64 v184, v106, v56
	v_fma_f16 v56, v106, v188, -v192
	v_mul_f16_e64 v186, v129, v53
	v_fmac_f16_e32 v55, v106, v53
	v_mul_f16_e64 v53, v129, v194
	v_mul_f16_e64 v192, v129, v181
	v_lshrrev_b32_e32 v109, 16, v52
	v_lshrrev_b32_e32 v112, 16, v49
	v_mul_f16_e64 v188, v129, v54
	v_mul_f16_e64 v129, v129, v128
	v_lshrrev_b32_e32 v114, 16, v50
	v_lshrrev_b32_e32 v180, 16, v47
	;; [unrolled: 1-line block ×3, first 2 shown]
	v_fmac_f16_e32 v53, v106, v54
	v_fmac_f16_e64 v192, v106, v128
	v_sub_f16_e64 v128, v51, v190
	v_sub_f16_e32 v108, v107, v108
	v_lshrrev_b32_e32 v185, 16, v45
	v_sub_f16_e32 v61, v52, v61
	v_sub_f16_e32 v110, v109, v110
	v_lshrrev_b32_e32 v187, 16, v46
	v_fma_f16 v186, v106, v191, -v186
	v_fma_f16 v54, v106, v194, -v188
	;; [unrolled: 1-line block ×3, first 2 shown]
	v_sub_f16_e64 v129, v49, v195
	v_sub_f16_e32 v59, v112, v59
	v_lshrrev_b32_e32 v189, 16, v43
	v_sub_f16_e32 v62, v50, v62
	v_sub_f16_e32 v113, v114, v113
	v_lshrrev_b32_e32 v193, 16, v44
	v_sub_f16_e32 v60, v47, v60
	v_sub_f16_e64 v57, v180, v57
	v_fma_f16 v51, v51, 2.0, -v128
	v_fma_f16 v107, v107, 2.0, -v108
	v_sub_f16_e64 v181, v48, v196
	v_sub_f16_e64 v115, v183, v115
	v_sub_f16_e32 v53, v44, v53
	v_fma_f16 v52, v52, 2.0, -v61
	v_fma_f16 v109, v109, 2.0, -v110
	v_sub_f16_e32 v58, v45, v58
	v_sub_f16_e64 v182, v185, v182
	v_fma_f16 v49, v49, 2.0, -v129
	v_fma_f16 v112, v112, 2.0, -v59
	v_sub_f16_e64 v184, v46, v184
	v_sub_f16_e64 v56, v187, v56
	v_fma_f16 v50, v50, 2.0, -v62
	v_fma_f16 v114, v114, 2.0, -v113
	v_sub_f16_e32 v55, v43, v55
	v_sub_f16_e64 v186, v189, v186
	v_fma_f16 v47, v47, 2.0, -v60
	v_fma_f16 v180, v180, 2.0, -v57
	v_sub_f16_e64 v54, v193, v54
	v_fma_f16 v48, v48, 2.0, -v181
	v_fma_f16 v183, v183, 2.0, -v115
	;; [unrolled: 1-line block ×3, first 2 shown]
	v_sub_f16_e32 v44, v127, v106
	v_pack_b32_f16 v51, v51, v107
	v_pack_b32_f16 v106, v128, v108
	v_fma_f16 v45, v45, 2.0, -v58
	v_fma_f16 v185, v185, 2.0, -v182
	v_pack_b32_f16 v52, v52, v109
	v_pack_b32_f16 v61, v61, v110
	v_fma_f16 v46, v46, 2.0, -v184
	v_fma_f16 v187, v187, 2.0, -v56
	v_pack_b32_f16 v49, v49, v112
	v_pack_b32_f16 v59, v129, v59
	v_fma_f16 v188, v43, 2.0, -v55
	v_fma_f16 v189, v189, 2.0, -v186
	v_pack_b32_f16 v50, v50, v114
	v_pack_b32_f16 v62, v62, v113
	v_fma_f16 v191, v193, 2.0, -v54
	v_pack_b32_f16 v47, v47, v180
	v_pack_b32_f16 v57, v60, v57
	v_sub_f16_e64 v43, v126, v192
	global_wb scope:SCOPE_SE
	s_barrier_signal -1
	s_barrier_wait -1
	global_inv scope:SCOPE_SE
	ds_store_2addr_b32 v121, v51, v106 offset1:2
	ds_store_2addr_b32 v122, v52, v61 offset1:2
	;; [unrolled: 1-line block ×5, first 2 shown]
	v_pack_b32_f16 v47, v48, v183
	v_pack_b32_f16 v48, v181, v115
	;; [unrolled: 1-line block ×10, first 2 shown]
	ds_store_2addr_b32 v116, v47, v48 offset1:2
	ds_store_2addr_b32 v117, v45, v49 offset1:2
	;; [unrolled: 1-line block ×5, first 2 shown]
	s_and_saveexec_b32 s1, vcc_lo
	s_cbranch_execz .LBB0_25
; %bb.24:
	v_fma_f16 v45, v126, 2.0, -v43
	v_and_or_b32 v46, 0x3fc, v111, v105
	v_fma_f16 v47, v127, 2.0, -v44
	s_delay_alu instid0(VALU_DEP_2) | instskip(NEXT) | instid1(VALU_DEP_2)
	v_lshlrev_b32_e32 v46, 2, v46
	v_pack_b32_f16 v45, v45, v47
	v_perm_b32 v47, v44, v43, 0x5040100
	ds_store_2addr_b32 v46, v45, v47 offset1:2
.LBB0_25:
	s_wait_alu 0xfffe
	s_or_b32 exec_lo, exec_lo, s1
	v_add_nc_u32_e32 v45, 0x400, v63
	v_add_nc_u32_e32 v46, 0x800, v63
	global_wb scope:SCOPE_SE
	s_wait_dscnt 0x0
	s_barrier_signal -1
	s_barrier_wait -1
	global_inv scope:SCOPE_SE
	ds_load_2addr_b32 v[47:48], v63 offset1:44
	ds_load_2addr_b32 v[49:50], v63 offset0:88 offset1:132
	ds_load_2addr_b32 v[51:52], v45 offset0:8 offset1:52
	;; [unrolled: 1-line block ×5, first 2 shown]
	v_add_nc_u32_e32 v109, 0xc00, v63
	ds_load_2addr_b32 v[59:60], v45 offset0:184 offset1:228
	ds_load_2addr_b32 v[61:62], v63 offset0:176 offset1:220
	;; [unrolled: 1-line block ×4, first 2 shown]
	ds_load_b32 v110, v63 offset:3520
	global_wb scope:SCOPE_SE
	s_wait_dscnt 0x0
	s_barrier_signal -1
	s_barrier_wait -1
	global_inv scope:SCOPE_SE
	v_lshrrev_b32_e32 v111, 16, v47
	v_lshrrev_b32_e32 v112, 16, v48
	;; [unrolled: 1-line block ×5, first 2 shown]
	v_mul_f16_e64 v182, v141, v52
	v_lshrrev_b32_e32 v117, 16, v54
	v_mul_f16_e64 v180, v141, v114
	v_mul_f16_e64 v184, v140, v115
	v_lshrrev_b32_e32 v118, 16, v56
	v_fma_f16 v114, v31, v114, -v182
	v_mul_f16_e64 v182, v141, v116
	v_fmac_f16_e64 v180, v31, v52
	v_mul_f16_e64 v52, v140, v53
	v_lshrrev_b32_e32 v119, 16, v57
	v_fmac_f16_e64 v184, v32, v53
	v_mul_f16_e64 v53, v141, v55
	v_fmac_f16_e64 v182, v31, v55
	v_fma_f16 v52, v32, v115, -v52
	v_mul_f16_e64 v115, v140, v117
	v_mul_f16_e64 v55, v140, v54
	v_lshrrev_b32_e32 v121, 16, v59
	v_fma_f16 v53, v31, v116, -v53
	v_mul_f16_e64 v116, v141, v118
	v_fmac_f16_e32 v115, v32, v54
	v_mul_f16_e64 v54, v141, v56
	v_fma_f16 v55, v32, v117, -v55
	v_mul_f16_e64 v117, v140, v119
	v_lshrrev_b32_e32 v122, 16, v58
	v_lshrrev_b32_e32 v124, 16, v60
	v_fmac_f16_e32 v116, v31, v56
	v_mul_f16_e64 v56, v140, v57
	v_fma_f16 v54, v31, v118, -v54
	v_mul_f16_e64 v118, v141, v121
	v_fmac_f16_e32 v117, v32, v57
	v_mul_f16_e64 v57, v141, v59
	v_lshrrev_b32_e32 v125, 16, v105
	v_fma_f16 v56, v32, v119, -v56
	v_mul_f16_e64 v119, v140, v122
	v_fmac_f16_e32 v118, v31, v59
	v_mul_f16_e64 v59, v140, v58
	v_fma_f16 v57, v31, v121, -v57
	v_mul_f16_e64 v121, v141, v124
	v_lshrrev_b32_e32 v127, 16, v107
	v_lshrrev_b32_e32 v128, 16, v106
	v_fmac_f16_e32 v119, v32, v58
	v_mul_f16_e64 v58, v141, v60
	v_fma_f16 v59, v32, v122, -v59
	v_mul_f16_e64 v122, v140, v125
	v_fmac_f16_e32 v121, v31, v60
	v_mul_f16_e64 v60, v140, v105
	v_lshrrev_b32_e32 v181, 16, v108
	v_fma_f16 v58, v31, v124, -v58
	v_mul_f16_e64 v124, v141, v127
	v_fmac_f16_e32 v122, v32, v105
	v_mul_f16_e64 v105, v141, v107
	v_fma_f16 v60, v32, v125, -v60
	v_mul_f16_e64 v125, v140, v128
	v_lshrrev_b32_e32 v183, 16, v110
	v_fmac_f16_e32 v124, v31, v107
	v_mul_f16_e64 v107, v140, v106
	v_fma_f16 v105, v31, v127, -v105
	v_mul_f16_e64 v127, v141, v181
	v_fmac_f16_e32 v125, v32, v106
	v_mul_f16_e64 v106, v141, v108
	v_fma_f16 v107, v32, v128, -v107
	v_mul_f16_e64 v128, v140, v183
	v_fmac_f16_e32 v127, v31, v108
	v_mul_f16_e64 v108, v140, v110
	v_fma_f16 v31, v31, v181, -v106
	v_add_f16_e64 v106, v180, v184
	v_fmac_f16_e64 v128, v32, v110
	v_add_f16_e64 v110, v47, v180
	v_fma_f16 v32, v32, v183, -v108
	v_add_f16_e32 v108, v114, v52
	v_fma_f16 v47, -0.5, v106, v47
	v_sub_f16_e32 v106, v114, v52
	v_add_f16_e32 v114, v111, v114
	v_add_f16_e64 v141, v48, v182
	v_fmac_f16_e32 v111, -0.5, v108
	v_sub_f16_e64 v108, v180, v184
	v_fma_f16 v140, 0xbaee, v106, v47
	v_fmac_f16_e32 v47, 0x3aee, v106
	v_add_f16_e64 v106, v182, v115
	v_add_f16_e32 v52, v114, v52
	v_fmamk_f16 v114, v108, 0x3aee, v111
	v_fmac_f16_e32 v111, 0xbaee, v108
	v_add_f16_e32 v108, v53, v55
	v_fmac_f16_e32 v48, -0.5, v106
	v_sub_f16_e32 v106, v53, v55
	v_add_f16_e32 v53, v112, v53
	v_lshrrev_b32_e32 v113, 16, v49
	v_fmac_f16_e32 v112, -0.5, v108
	v_sub_f16_e64 v108, v182, v115
	v_add_f16_e64 v141, v141, v115
	v_add_f16_e32 v53, v53, v55
	v_add_f16_e32 v55, v116, v117
	v_fmamk_f16 v115, v106, 0xbaee, v48
	v_fmac_f16_e32 v48, 0x3aee, v106
	v_fmamk_f16 v106, v108, 0x3aee, v112
	v_add_f16_e64 v180, v49, v116
	v_fmac_f16_e32 v112, 0xbaee, v108
	v_add_f16_e32 v108, v54, v56
	v_fma_f16 v49, -0.5, v55, v49
	v_sub_f16_e32 v55, v54, v56
	v_lshrrev_b32_e32 v120, 16, v50
	v_add_f16_e32 v54, v113, v54
	v_fmac_f16_e32 v113, -0.5, v108
	v_sub_f16_e32 v108, v116, v117
	v_fmamk_f16 v116, v55, 0xbaee, v49
	v_fmac_f16_e32 v49, 0x3aee, v55
	v_add_f16_e32 v55, v118, v119
	v_add_f16_e64 v180, v180, v117
	v_add_f16_e32 v54, v54, v56
	v_fmamk_f16 v56, v108, 0x3aee, v113
	v_add_f16_e32 v117, v50, v118
	v_fmac_f16_e32 v113, 0xbaee, v108
	v_add_f16_e32 v108, v57, v59
	v_fmac_f16_e32 v50, -0.5, v55
	v_sub_f16_e32 v55, v57, v59
	v_add_f16_e32 v57, v120, v57
	v_lshrrev_b32_e32 v123, 16, v61
	v_fmac_f16_e32 v120, -0.5, v108
	v_sub_f16_e32 v108, v118, v119
	v_fmamk_f16 v118, v55, 0xbaee, v50
	v_fmac_f16_e32 v50, 0x3aee, v55
	v_add_f16_e32 v55, v57, v59
	v_add_f16_e32 v57, v121, v122
	v_add_f16_e32 v117, v117, v119
	v_fmamk_f16 v59, v108, 0x3aee, v120
	v_add_f16_e32 v119, v61, v121
	v_fmac_f16_e32 v120, 0xbaee, v108
	v_add_f16_e32 v108, v58, v60
	v_fma_f16 v57, -0.5, v57, v61
	v_sub_f16_e32 v61, v58, v60
	v_add_f16_e32 v58, v123, v58
	v_lshrrev_b32_e32 v126, 16, v62
	v_fmac_f16_e32 v123, -0.5, v108
	v_sub_f16_e32 v108, v121, v122
	v_add_f16_e32 v119, v119, v122
	v_add_f16_e32 v58, v58, v60
	;; [unrolled: 1-line block ×3, first 2 shown]
	v_fmamk_f16 v121, v61, 0xbaee, v57
	v_fmac_f16_e32 v57, 0x3aee, v61
	v_fmamk_f16 v61, v108, 0x3aee, v123
	v_add_f16_e32 v122, v62, v124
	v_fmac_f16_e32 v123, 0xbaee, v108
	v_add_f16_e32 v108, v105, v107
	v_fmac_f16_e32 v62, -0.5, v60
	v_sub_f16_e32 v60, v105, v107
	v_add_f16_e32 v105, v126, v105
	v_lshrrev_b32_e32 v129, 16, v51
	v_fmac_f16_e32 v126, -0.5, v108
	v_sub_f16_e32 v108, v124, v125
	v_fmamk_f16 v124, v60, 0xbaee, v62
	v_fmac_f16_e32 v62, 0x3aee, v60
	v_add_f16_e32 v60, v105, v107
	v_add_f16_e64 v105, v127, v128
	v_add_f16_e64 v110, v110, v184
	v_add_f16_e32 v122, v122, v125
	v_fmamk_f16 v107, v108, 0x3aee, v126
	v_fmac_f16_e32 v126, 0xbaee, v108
	v_add_f16_e32 v108, v31, v32
	v_add_f16_e32 v125, v51, v127
	v_fmac_f16_e32 v51, -0.5, v105
	v_sub_f16_e32 v105, v31, v32
	v_add_f16_e64 v31, v129, v31
	v_fmac_f16_e64 v129, -0.5, v108
	v_sub_f16_e64 v108, v127, v128
	v_pack_b32_f16 v52, v110, v52
	v_fmamk_f16 v127, v105, 0xbaee, v51
	v_fmac_f16_e32 v51, 0x3aee, v105
	v_pack_b32_f16 v105, v140, v114
	v_pack_b32_f16 v47, v47, v111
	;; [unrolled: 1-line block ×5, first 2 shown]
	ds_store_2addr_b32 v136, v52, v105 offset1:4
	ds_store_b32 v136, v47 offset:32
	ds_store_2addr_b32 v135, v53, v106 offset1:4
	ds_store_b32 v135, v48 offset:32
	v_pack_b32_f16 v47, v180, v54
	v_pack_b32_f16 v48, v116, v56
	;; [unrolled: 1-line block ×5, first 2 shown]
	v_add_f16_e64 v125, v125, v128
	v_add_f16_e32 v31, v31, v32
	v_fma_f16 v32, 0x3aee, v108, v129
	v_pack_b32_f16 v50, v50, v120
	v_fmac_f16_e64 v129, 0xbaee, v108
	v_pack_b32_f16 v54, v119, v58
	v_pack_b32_f16 v55, v121, v61
	ds_store_2addr_b32 v134, v47, v48 offset1:4
	ds_store_b32 v134, v49 offset:32
	ds_store_2addr_b32 v133, v52, v53 offset1:4
	ds_store_b32 v133, v50 offset:32
	ds_store_2addr_b32 v132, v54, v55 offset1:4
	v_pack_b32_f16 v47, v57, v123
	v_pack_b32_f16 v48, v122, v60
	;; [unrolled: 1-line block ×7, first 2 shown]
	ds_store_b32 v132, v47 offset:32
	ds_store_2addr_b32 v131, v48, v49 offset1:4
	ds_store_b32 v131, v50 offset:32
	ds_store_2addr_b32 v130, v31, v32 offset1:4
	ds_store_b32 v130, v51 offset:32
	global_wb scope:SCOPE_SE
	s_wait_dscnt 0x0
	s_barrier_signal -1
	s_barrier_wait -1
	global_inv scope:SCOPE_SE
	ds_load_2addr_b32 v[31:32], v63 offset1:44
	ds_load_2addr_b32 v[48:49], v63 offset0:88 offset1:132
	ds_load_2addr_b32 v[50:51], v45 offset0:8 offset1:52
	;; [unrolled: 1-line block ×9, first 2 shown]
	ds_load_b32 v109, v63 offset:3520
	global_wb scope:SCOPE_SE
	s_wait_dscnt 0x0
	s_barrier_signal -1
	s_barrier_wait -1
	global_inv scope:SCOPE_SE
	v_lshrrev_b32_e32 v47, 16, v31
	v_lshrrev_b32_e32 v62, 16, v49
	;; [unrolled: 1-line block ×6, first 2 shown]
	v_mul_f16_e64 v125, v159, v62
	v_lshrrev_b32_e32 v114, 16, v58
	v_mul_f16_e64 v130, v158, v110
	v_mul_f16_e64 v131, v158, v50
	;; [unrolled: 1-line block ×3, first 2 shown]
	v_fmac_f16_e32 v125, v8, v49
	v_mul_f16_e64 v49, v159, v49
	v_lshrrev_b32_e32 v116, 16, v60
	v_lshrrev_b32_e32 v117, 16, v51
	v_mul_f16_e64 v133, v157, v53
	v_fmac_f16_e64 v130, v9, v50
	v_fma_f16 v8, v8, v62, -v49
	v_fma_f16 v9, v9, v110, -v131
	v_fmac_f16_e64 v132, v10, v53
	v_mul_f16_e64 v49, v156, v112
	v_mul_f16_e64 v50, v156, v54
	;; [unrolled: 1-line block ×5, first 2 shown]
	v_lshrrev_b32_e32 v118, 16, v105
	v_lshrrev_b32_e32 v119, 16, v55
	;; [unrolled: 1-line block ×3, first 2 shown]
	v_fmac_f16_e32 v49, v11, v54
	v_fma_f16 v11, v11, v112, -v50
	v_fmac_f16_e32 v53, v37, v57
	v_fma_f16 v37, v37, v113, -v62
	v_fmac_f16_e32 v110, v38, v58
	v_mul_f16_e64 v50, v154, v58
	v_mul_f16_e64 v54, v153, v116
	;; [unrolled: 1-line block ×5, first 2 shown]
	v_lshrrev_b32_e32 v121, 16, v59
	v_lshrrev_b32_e32 v123, 16, v61
	v_fma_f16 v38, v38, v114, -v50
	v_fmac_f16_e32 v54, v4, v60
	v_fma_f16 v4, v4, v116, -v57
	v_fmac_f16_e32 v58, v5, v51
	v_fma_f16 v5, v5, v117, -v62
	v_mul_f16_e64 v50, v151, v118
	v_mul_f16_e64 v51, v151, v105
	v_mul_f16_e64 v57, v150, v119
	v_mul_f16_e64 v62, v149, v120
	v_lshrrev_b32_e32 v124, 16, v52
	v_lshrrev_b32_e32 v127, 16, v56
	v_mul_f16_e64 v60, v150, v55
	v_fmac_f16_e32 v50, v6, v105
	v_fma_f16 v6, v6, v118, -v51
	v_fmac_f16_e32 v57, v7, v55
	v_fmac_f16_e32 v62, v35, v107
	v_mul_f16_e64 v51, v149, v107
	v_mul_f16_e64 v55, v148, v121
	;; [unrolled: 1-line block ×4, first 2 shown]
	v_lshrrev_b32_e32 v126, 16, v106
	v_lshrrev_b32_e32 v128, 16, v108
	v_fma_f16 v7, v7, v119, -v60
	v_mul_f16_e64 v60, v148, v59
	v_fma_f16 v35, v35, v120, -v51
	v_fmac_f16_e32 v55, v36, v59
	v_fmac_f16_e32 v105, v0, v61
	v_fma_f16 v51, v0, v123, -v107
	v_mul_f16_e64 v59, v146, v124
	v_mul_f16_e64 v0, v146, v52
	;; [unrolled: 1-line block ×3, first 2 shown]
	v_lshrrev_b32_e32 v129, 16, v109
	v_fma_f16 v10, v10, v111, -v133
	v_fma_f16 v36, v36, v121, -v60
	v_mul_f16_e64 v60, v145, v126
	v_mul_f16_e64 v61, v145, v106
	v_fmac_f16_e32 v59, v1, v52
	v_fma_f16 v111, v1, v124, -v0
	v_fmac_f16_e32 v107, v3, v56
	v_mul_f16_e64 v0, v144, v56
	v_mul_f16_e64 v56, v143, v128
	;; [unrolled: 1-line block ×3, first 2 shown]
	v_fmac_f16_e32 v60, v2, v106
	v_fma_f16 v61, v2, v126, -v61
	v_mul_f16_e64 v106, v142, v129
	v_mul_f16_e64 v2, v142, v109
	v_fma_f16 v3, v3, v127, -v0
	v_fmac_f16_e32 v56, v33, v108
	v_fma_f16 v33, v33, v128, -v1
	v_add_f16_e32 v0, v125, v110
	v_add_f16_e32 v1, v8, v38
	v_sub_f16_e32 v8, v8, v38
	v_add_f16_e64 v38, v130, v53
	v_add_f16_e32 v52, v9, v37
	v_fmac_f16_e32 v106, v34, v109
	v_fma_f16 v34, v34, v129, -v2
	v_sub_f16_e32 v2, v125, v110
	v_sub_f16_e64 v53, v130, v53
	v_sub_f16_e32 v9, v9, v37
	v_add_f16_e64 v37, v132, v49
	v_add_f16_e32 v108, v10, v11
	v_sub_f16_e64 v49, v49, v132
	v_sub_f16_e32 v10, v11, v10
	v_add_f16_e32 v11, v38, v0
	v_add_f16_e32 v109, v52, v1
	v_sub_f16_e32 v110, v38, v0
	v_sub_f16_e32 v112, v52, v1
	;; [unrolled: 1-line block ×6, first 2 shown]
	v_add_f16_e32 v113, v49, v53
	v_add_f16_e32 v114, v10, v9
	v_sub_f16_e32 v116, v49, v53
	v_sub_f16_e32 v117, v10, v9
	;; [unrolled: 1-line block ×3, first 2 shown]
	v_add_f16_e32 v11, v37, v11
	v_add_f16_e32 v37, v108, v109
	v_sub_f16_e32 v9, v9, v8
	v_sub_f16_e32 v49, v2, v49
	;; [unrolled: 1-line block ×3, first 2 shown]
	v_add_f16_e32 v2, v113, v2
	v_add_f16_e32 v8, v114, v8
	;; [unrolled: 1-line block ×4, first 2 shown]
	v_mul_f16_e32 v0, 0x3a52, v0
	v_mul_f16_e32 v1, 0x3a52, v1
	;; [unrolled: 1-line block ×8, first 2 shown]
	v_fmamk_f16 v11, v11, 0xbcab, v31
	v_fmamk_f16 v37, v37, 0xbcab, v108
	;; [unrolled: 1-line block ×4, first 2 shown]
	v_fma_f16 v47, v110, 0x39e0, -v47
	v_fma_f16 v109, v112, 0x39e0, -v109
	;; [unrolled: 1-line block ×4, first 2 shown]
	v_fmamk_f16 v110, v49, 0xb574, v113
	v_fmamk_f16 v112, v10, 0xb574, v114
	v_fma_f16 v9, v9, 0xbb00, -v114
	v_fma_f16 v49, v49, 0x3574, -v116
	;; [unrolled: 1-line block ×3, first 2 shown]
	v_add_f16_e32 v47, v47, v11
	v_add_f16_e32 v0, v0, v11
	v_add_f16_e32 v1, v1, v37
	v_fmac_f16_e32 v49, 0xb70e, v2
	v_fmac_f16_e32 v10, 0xb70e, v8
	;; [unrolled: 1-line block ×3, first 2 shown]
	v_fma_f16 v53, v53, 0xbb00, -v113
	v_fmac_f16_e32 v112, 0xb70e, v8
	v_sub_f16_e32 v114, v1, v49
	v_add_f16_e32 v113, v10, v0
	v_sub_f16_e32 v116, v47, v9
	v_add_f16_e32 v118, v9, v47
	;; [unrolled: 2-line block ×3, first 2 shown]
	v_add_f16_e32 v0, v54, v55
	v_add_f16_e32 v1, v4, v36
	;; [unrolled: 1-line block ×6, first 2 shown]
	v_fmac_f16_e32 v110, 0xb70e, v2
	v_fmac_f16_e32 v53, 0xb70e, v2
	v_sub_f16_e32 v2, v54, v55
	v_sub_f16_e32 v4, v4, v36
	;; [unrolled: 1-line block ×4, first 2 shown]
	v_add_f16_e32 v35, v50, v57
	v_add_f16_e32 v47, v6, v7
	v_sub_f16_e32 v49, v57, v50
	v_sub_f16_e32 v6, v7, v6
	v_add_f16_e32 v7, v8, v0
	v_add_f16_e32 v50, v9, v1
	v_lshrrev_b32_e32 v115, 16, v32
	v_sub_f16_e32 v37, v52, v110
	v_add_f16_e32 v117, v53, v109
	v_sub_f16_e32 v109, v109, v53
	v_add_f16_e32 v110, v110, v52
	v_sub_f16_e32 v52, v8, v0
	v_sub_f16_e32 v53, v9, v1
	;; [unrolled: 1-line block ×6, first 2 shown]
	v_add_f16_e32 v54, v49, v36
	v_add_f16_e32 v55, v6, v5
	v_sub_f16_e32 v57, v49, v36
	v_sub_f16_e32 v58, v6, v5
	;; [unrolled: 1-line block ×3, first 2 shown]
	v_add_f16_e32 v7, v35, v7
	v_add_f16_e32 v35, v47, v50
	;; [unrolled: 1-line block ×3, first 2 shown]
	v_sub_f16_e32 v49, v2, v49
	v_sub_f16_e32 v6, v4, v6
	;; [unrolled: 1-line block ×3, first 2 shown]
	v_add_f16_e32 v2, v54, v2
	v_add_f16_e32 v4, v55, v4
	;; [unrolled: 1-line block ×4, first 2 shown]
	v_mul_f16_e32 v0, 0x3a52, v0
	v_mul_f16_e32 v1, 0x3a52, v1
	;; [unrolled: 1-line block ×7, first 2 shown]
	v_add_f16_e32 v11, v112, v38
	v_sub_f16_e32 v38, v38, v112
	v_mul_f16_e32 v58, 0xbb00, v5
	v_fmamk_f16 v7, v7, 0xbcab, v32
	v_fmamk_f16 v35, v35, 0xbcab, v62
	;; [unrolled: 1-line block ×4, first 2 shown]
	v_fma_f16 v47, v52, 0x39e0, -v47
	v_fma_f16 v50, v53, 0x39e0, -v50
	;; [unrolled: 1-line block ×3, first 2 shown]
	v_fmamk_f16 v53, v49, 0xb574, v54
	v_fmamk_f16 v112, v6, 0xb574, v55
	v_fma_f16 v5, v5, 0xbb00, -v55
	v_fma_f16 v49, v49, 0x3574, -v57
	;; [unrolled: 1-line block ×5, first 2 shown]
	v_add_f16_e32 v8, v8, v7
	v_add_f16_e32 v9, v9, v35
	;; [unrolled: 1-line block ×5, first 2 shown]
	v_fmac_f16_e32 v53, 0xb70e, v2
	v_fmac_f16_e32 v112, 0xb70e, v4
	;; [unrolled: 1-line block ×4, first 2 shown]
	v_add_f16_e32 v7, v0, v7
	v_fmac_f16_e32 v36, 0xb70e, v2
	v_fmac_f16_e32 v6, 0xb70e, v4
	v_add_f16_e32 v57, v112, v8
	v_sub_f16_e32 v58, v9, v53
	v_sub_f16_e32 v120, v35, v49
	;; [unrolled: 1-line block ×3, first 2 shown]
	v_add_f16_e32 v0, v5, v47
	v_add_f16_e32 v52, v49, v35
	v_sub_f16_e32 v2, v8, v112
	v_add_f16_e32 v49, v53, v9
	v_add_f16_e32 v4, v105, v106
	;; [unrolled: 1-line block ×7, first 2 shown]
	v_sub_f16_e32 v47, v50, v36
	v_sub_f16_e32 v1, v7, v6
	;; [unrolled: 1-line block ×5, first 2 shown]
	v_add_f16_e32 v35, v60, v107
	v_add_f16_e32 v36, v61, v3
	v_sub_f16_e32 v50, v107, v60
	v_sub_f16_e32 v3, v3, v61
	v_add_f16_e32 v51, v8, v4
	v_add_f16_e32 v53, v9, v5
	v_lshrrev_b32_e32 v122, 16, v48
	v_sub_f16_e32 v6, v105, v106
	v_sub_f16_e32 v54, v8, v4
	;; [unrolled: 1-line block ×7, first 2 shown]
	v_add_f16_e32 v56, v50, v34
	v_add_f16_e32 v59, v3, v33
	v_sub_f16_e32 v60, v50, v34
	v_sub_f16_e32 v61, v3, v33
	v_add_f16_e32 v35, v35, v51
	v_add_f16_e32 v36, v36, v53
	v_sub_f16_e32 v50, v6, v50
	v_sub_f16_e32 v105, v7, v3
	;; [unrolled: 1-line block ×4, first 2 shown]
	v_add_f16_e32 v6, v56, v6
	v_add_f16_e32 v7, v59, v7
	;; [unrolled: 1-line block ×4, first 2 shown]
	v_mul_f16_e32 v4, 0x3a52, v4
	v_mul_f16_e32 v5, 0x3a52, v5
	;; [unrolled: 1-line block ×8, first 2 shown]
	v_fmamk_f16 v35, v35, 0xbcab, v3
	v_fmamk_f16 v36, v36, 0xbcab, v51
	;; [unrolled: 1-line block ×4, first 2 shown]
	v_fma_f16 v48, v54, 0x39e0, -v48
	v_fma_f16 v53, v55, 0x39e0, -v53
	;; [unrolled: 1-line block ×5, first 2 shown]
	v_fmamk_f16 v106, v50, 0xb574, v56
	v_fmamk_f16 v107, v105, 0xb574, v59
	v_fma_f16 v55, v50, 0x3574, -v60
	v_fma_f16 v56, v105, 0x3574, -v61
	v_add_f16_e32 v59, v8, v35
	v_add_f16_e32 v60, v9, v36
	;; [unrolled: 1-line block ×4, first 2 shown]
	v_fmac_f16_e32 v34, 0xb70e, v6
	v_fmac_f16_e32 v33, 0xb70e, v7
	v_fma_f16 v4, v54, 0xb9e0, -v4
	v_pack_b32_f16 v31, v31, v108
	v_pack_b32_f16 v11, v11, v37
	v_fmac_f16_e32 v106, 0xb70e, v6
	v_fmac_f16_e32 v107, 0xb70e, v7
	;; [unrolled: 1-line block ×4, first 2 shown]
	v_sub_f16_e32 v6, v8, v33
	v_add_f16_e32 v50, v34, v9
	v_add_f16_e32 v7, v33, v8
	v_sub_f16_e32 v54, v9, v34
	v_pack_b32_f16 v33, v113, v114
	v_pack_b32_f16 v34, v116, v117
	v_add_f16_e32 v35, v4, v35
	v_add_f16_e32 v36, v5, v36
	ds_store_2addr_b32 v139, v31, v11 offset1:12
	ds_store_2addr_b32 v139, v33, v34 offset0:24 offset1:36
	v_pack_b32_f16 v11, v118, v109
	v_pack_b32_f16 v10, v10, v119
	v_add_f16_e32 v4, v107, v59
	v_sub_f16_e32 v53, v60, v106
	v_pack_b32_f16 v31, v38, v110
	v_add_f16_e32 v5, v56, v35
	v_sub_f16_e32 v48, v36, v55
	v_pack_b32_f16 v32, v32, v62
	v_pack_b32_f16 v33, v57, v58
	v_sub_f16_e32 v8, v35, v56
	v_add_f16_e32 v55, v55, v36
	v_pack_b32_f16 v34, v115, v120
	v_pack_b32_f16 v35, v121, v123
	v_sub_f16_e32 v9, v59, v107
	v_add_f16_e32 v56, v106, v60
	v_pack_b32_f16 v36, v0, v47
	v_pack_b32_f16 v37, v1, v52
	ds_store_2addr_b32 v139, v11, v10 offset0:48 offset1:60
	ds_store_b32 v139, v31 offset:288
	ds_store_2addr_b32 v138, v32, v33 offset1:12
	ds_store_2addr_b32 v138, v34, v35 offset0:24 offset1:36
	ds_store_2addr_b32 v138, v36, v37 offset0:48 offset1:60
	v_pack_b32_f16 v10, v2, v49
	v_pack_b32_f16 v11, v3, v51
	;; [unrolled: 1-line block ×7, first 2 shown]
	v_add_nc_u32_e32 v57, 0x600, v63
	v_pack_b32_f16 v36, v9, v56
	ds_store_b32 v138, v10 offset:288
	ds_store_2addr_b32 v137, v11, v31 offset1:12
	ds_store_2addr_b32 v137, v32, v33 offset0:24 offset1:36
	ds_store_2addr_b32 v137, v34, v35 offset0:48 offset1:60
	ds_store_b32 v137, v36 offset:288
	global_wb scope:SCOPE_SE
	s_wait_dscnt 0x0
	s_barrier_signal -1
	s_barrier_wait -1
	global_inv scope:SCOPE_SE
	ds_load_2addr_b32 v[10:11], v63 offset1:84
	ds_load_2addr_b32 v[37:38], v63 offset0:168 offset1:252
	ds_load_2addr_b32 v[35:36], v45 offset0:80 offset1:164
	;; [unrolled: 1-line block ×4, first 2 shown]
	ds_load_b32 v58, v63 offset:3360
	s_and_saveexec_b32 s1, s0
	s_cbranch_execz .LBB0_27
; %bb.26:
	v_add_nc_u32_e32 v2, 0x200, v63
	v_add_nc_u32_e32 v8, 0xa00, v63
	ds_load_2addr_b32 v[0:1], v63 offset0:44 offset1:128
	ds_load_2addr_b32 v[4:5], v45 offset0:124 offset1:208
	;; [unrolled: 1-line block ×5, first 2 shown]
	ds_load_b32 v43, v63 offset:3536
	s_wait_dscnt 0x3
	v_lshrrev_b32_e32 v50, 16, v6
	v_lshrrev_b32_e32 v47, 16, v0
	;; [unrolled: 1-line block ×6, first 2 shown]
	s_wait_dscnt 0x2
	v_lshrrev_b32_e32 v49, 16, v2
	v_lshrrev_b32_e32 v51, 16, v3
	s_wait_dscnt 0x1
	v_lshrrev_b32_e32 v55, 16, v8
	v_lshrrev_b32_e32 v56, 16, v9
	s_wait_dscnt 0x0
	v_lshrrev_b32_e32 v44, 16, v43
.LBB0_27:
	s_wait_alu 0xfffe
	s_or_b32 exec_lo, exec_lo, s1
	s_wait_dscnt 0x5
	v_lshrrev_b32_e32 v60, 16, v11
	s_wait_dscnt 0x4
	v_lshrrev_b32_e32 v61, 16, v37
	v_mul_f16_e64 v111, v179, v11
	s_wait_dscnt 0x3
	v_lshrrev_b32_e32 v105, 16, v35
	v_lshrrev_b32_e32 v62, 16, v38
	v_mul_f16_e64 v110, v179, v60
	v_mul_f16_e64 v113, v178, v61
	v_lshrrev_b32_e32 v106, 16, v36
	v_lshrrev_b32_e32 v59, 16, v10
	s_wait_dscnt 0x2
	v_lshrrev_b32_e32 v107, 16, v33
	v_fmac_f16_e32 v110, v24, v11
	v_fma_f16 v11, v24, v60, -v111
	v_mul_f16_e64 v24, v178, v37
	v_fmac_f16_e32 v113, v25, v37
	v_mul_f16_e64 v111, v177, v105
	v_mul_f16_e64 v37, v176, v62
	v_mul_f16_e64 v60, v176, v38
	v_fma_f16 v24, v25, v61, -v24
	v_mul_f16_e64 v25, v177, v35
	v_fmac_f16_e32 v111, v27, v35
	v_mul_f16_e64 v35, v174, v106
	v_fmac_f16_e32 v37, v26, v38
	v_fma_f16 v26, v26, v62, -v60
	v_fma_f16 v25, v27, v105, -v25
	v_add_f16_e32 v27, v10, v110
	v_mul_f16_e64 v38, v174, v36
	v_mul_f16_e64 v60, v172, v107
	v_fmac_f16_e32 v35, v20, v36
	v_add_f16_e32 v36, v59, v11
	v_add_f16_e32 v27, v27, v113
	v_lshrrev_b32_e32 v108, 16, v34
	v_fmac_f16_e32 v60, v21, v33
	v_mul_f16_e64 v33, v172, v33
	v_add_f16_e32 v36, v36, v24
	v_add_f16_e32 v27, v27, v37
	s_wait_dscnt 0x1
	v_lshrrev_b32_e32 v109, 16, v31
	v_fma_f16 v20, v20, v106, -v38
	v_mul_f16_e64 v38, v173, v108
	v_fma_f16 v21, v21, v107, -v33
	v_add_f16_e32 v33, v36, v26
	v_add_f16_e32 v27, v27, v111
	v_lshrrev_b32_e32 v112, 16, v32
	v_mul_f16_e64 v61, v173, v34
	v_fmac_f16_e32 v38, v22, v34
	v_mul_f16_e64 v34, v171, v109
	v_add_f16_e32 v33, v33, v25
	v_add_f16_e32 v27, v27, v35
	s_wait_dscnt 0x0
	v_lshrrev_b32_e32 v114, 16, v58
	v_fma_f16 v22, v22, v108, -v61
	v_mul_f16_e64 v36, v171, v31
	v_mul_f16_e64 v61, v170, v112
	v_fmac_f16_e32 v34, v23, v31
	v_add_f16_e32 v31, v33, v20
	v_add_f16_e32 v27, v27, v60
	v_mul_f16_e64 v33, v175, v58
	v_fma_f16 v23, v23, v109, -v36
	v_fmac_f16_e32 v61, v41, v32
	v_add_f16_e32 v31, v31, v21
	v_add_f16_e32 v27, v27, v38
	v_mul_f16_e64 v32, v170, v32
	v_mul_f16_e64 v36, v175, v114
	v_fma_f16 v33, v42, v114, -v33
	v_add_f16_e32 v31, v31, v22
	v_add_f16_e32 v27, v27, v34
	v_fma_f16 v32, v41, v112, -v32
	v_fmac_f16_e32 v36, v42, v58
	v_sub_f16_e32 v41, v11, v33
	v_add_f16_e32 v31, v31, v23
	v_add_f16_e32 v27, v27, v61
	;; [unrolled: 1-line block ×4, first 2 shown]
	v_mul_f16_e32 v58, 0xb853, v41
	v_sub_f16_e32 v121, v24, v32
	v_add_f16_e32 v31, v31, v32
	v_sub_f16_e32 v62, v110, v36
	v_mul_f16_e32 v105, 0x3abb, v11
	v_fmamk_f16 v106, v42, 0x3abb, v58
	v_add_f16_e32 v27, v27, v36
	v_mul_f16_e32 v36, 0xbb47, v41
	v_mul_f16_e32 v108, 0x36a6, v11
	v_mul_f16_e32 v109, 0xbbeb, v41
	v_mul_f16_e32 v114, 0xb08e, v11
	v_mul_f16_e32 v116, 0xba0c, v41
	v_mul_f16_e32 v117, 0xb93d, v11
	v_mul_f16_e32 v41, 0xb482, v41
	v_mul_f16_e32 v11, 0xbbad, v11
	v_add_f16_e32 v123, v113, v61
	v_mul_f16_e32 v124, 0xbb47, v121
	v_add_f16_e32 v24, v24, v32
	v_add_f16_e32 v31, v31, v33
	v_fmamk_f16 v33, v62, 0x3853, v105
	v_add_f16_e32 v106, v10, v106
	v_fma_f16 v58, v42, 0x3abb, -v58
	v_fmac_f16_e32 v105, 0xb853, v62
	v_fmamk_f16 v107, v42, 0x36a6, v36
	v_fmamk_f16 v110, v62, 0x3b47, v108
	v_fma_f16 v36, v42, 0x36a6, -v36
	v_fmac_f16_e32 v108, 0xbb47, v62
	v_fmamk_f16 v112, v42, 0xb08e, v109
	v_fmamk_f16 v115, v62, 0x3beb, v114
	;; [unrolled: 4-line block ×4, first 2 shown]
	v_fma_f16 v32, v42, 0xbbad, -v41
	v_fmac_f16_e32 v11, 0xb482, v62
	v_sub_f16_e32 v41, v113, v61
	v_fmamk_f16 v42, v123, 0x36a6, v124
	v_mul_f16_e32 v61, 0x36a6, v24
	v_add_f16_e32 v33, v59, v33
	v_add_f16_e32 v58, v10, v58
	;; [unrolled: 1-line block ×20, first 2 shown]
	v_fmamk_f16 v42, v41, 0x3b47, v61
	v_mul_f16_e32 v59, 0xba0c, v121
	v_fma_f16 v106, v123, 0x36a6, -v124
	v_fmac_f16_e32 v61, 0xbb47, v41
	v_mul_f16_e32 v113, 0xb93d, v24
	v_add_f16_e32 v33, v42, v33
	v_fmamk_f16 v42, v123, 0xb93d, v59
	v_add_f16_e32 v58, v106, v58
	v_add_f16_e32 v61, v61, v105
	v_fmamk_f16 v105, v41, 0x3a0c, v113
	v_mul_f16_e32 v106, 0x3482, v121
	v_fma_f16 v59, v123, 0xb93d, -v59
	v_fmac_f16_e32 v113, 0xba0c, v41
	v_add_f16_e32 v42, v42, v107
	v_add_f16_e32 v105, v105, v110
	v_fmamk_f16 v107, v123, 0xbbad, v106
	v_mul_f16_e32 v110, 0xbbad, v24
	v_add_f16_e32 v36, v59, v36
	v_add_f16_e32 v59, v113, v108
	v_mul_f16_e32 v108, 0x3beb, v121
	v_add_f16_e32 v107, v107, v112
	v_fmamk_f16 v112, v41, 0xb482, v110
	v_fma_f16 v106, v123, 0xbbad, -v106
	v_fmac_f16_e32 v110, 0x3482, v41
	v_fmamk_f16 v113, v123, 0xb08e, v108
	v_mul_f16_e32 v122, 0xb08e, v24
	v_mul_f16_e32 v24, 0x3abb, v24
	v_add_f16_e32 v106, v106, v109
	v_add_f16_e32 v109, v110, v114
	;; [unrolled: 1-line block ×3, first 2 shown]
	v_fmamk_f16 v113, v41, 0xbbeb, v122
	v_fma_f16 v108, v123, 0xb08e, -v108
	v_fmac_f16_e32 v122, 0x3beb, v41
	v_mul_f16_e32 v114, 0x3853, v121
	v_fmamk_f16 v118, v41, 0xb853, v24
	v_add_f16_e32 v112, v112, v115
	v_add_f16_e32 v108, v108, v116
	;; [unrolled: 1-line block ×3, first 2 shown]
	v_sub_f16_e32 v117, v26, v23
	v_add_f16_e32 v23, v26, v23
	v_fmamk_f16 v115, v123, 0x3abb, v114
	v_add_f16_e32 v62, v118, v62
	v_add_f16_e32 v118, v37, v34
	v_mul_f16_e32 v26, 0xbbeb, v117
	v_fma_f16 v114, v123, 0x3abb, -v114
	v_fmac_f16_e32 v24, 0x3853, v41
	v_sub_f16_e32 v34, v37, v34
	v_mul_f16_e32 v37, 0xb08e, v23
	v_fmamk_f16 v41, v118, 0xb08e, v26
	v_add_f16_e32 v10, v114, v10
	v_add_f16_e32 v11, v24, v11
	v_mul_f16_e32 v24, 0x3482, v117
	v_fmamk_f16 v114, v34, 0x3beb, v37
	v_add_f16_e32 v32, v41, v32
	v_fma_f16 v26, v118, 0xb08e, -v26
	v_fmac_f16_e32 v37, 0xbbeb, v34
	v_fmamk_f16 v41, v118, 0xbbad, v24
	v_add_f16_e32 v33, v114, v33
	v_mul_f16_e32 v114, 0xbbad, v23
	v_add_f16_e32 v26, v26, v58
	v_add_f16_e32 v37, v37, v61
	;; [unrolled: 1-line block ×3, first 2 shown]
	v_mul_f16_e32 v42, 0x3b47, v117
	v_fmamk_f16 v58, v34, 0xb482, v114
	v_fma_f16 v24, v118, 0xbbad, -v24
	v_fmac_f16_e32 v114, 0x3482, v34
	v_mul_f16_e32 v61, 0x36a6, v23
	v_add_f16_e32 v113, v113, v119
	v_fmamk_f16 v119, v118, 0x36a6, v42
	v_add_f16_e32 v24, v24, v36
	v_add_f16_e32 v36, v114, v59
	v_fmamk_f16 v59, v34, 0xbb47, v61
	v_add_f16_e32 v58, v58, v105
	v_add_f16_e32 v105, v119, v107
	v_mul_f16_e32 v107, 0xb853, v117
	v_fma_f16 v42, v118, 0x36a6, -v42
	v_fmac_f16_e32 v61, 0x3b47, v34
	v_add_f16_e32 v59, v59, v112
	v_mul_f16_e32 v112, 0x3abb, v23
	v_fmamk_f16 v114, v118, 0x3abb, v107
	v_add_f16_e32 v42, v42, v106
	v_add_f16_e32 v61, v61, v109
	v_mul_f16_e32 v106, 0xba0c, v117
	v_fmamk_f16 v109, v34, 0x3853, v112
	v_add_f16_e32 v115, v115, v120
	v_add_f16_e32 v110, v114, v110
	v_fma_f16 v107, v118, 0x3abb, -v107
	v_fmac_f16_e32 v112, 0xb853, v34
	v_fmamk_f16 v114, v118, 0xb93d, v106
	v_add_f16_e32 v109, v109, v113
	v_mul_f16_e32 v23, 0xb93d, v23
	v_sub_f16_e32 v113, v25, v22
	v_add_f16_e32 v22, v25, v22
	v_add_f16_e32 v107, v107, v108
	v_add_f16_e32 v108, v112, v116
	v_add_f16_e32 v112, v114, v115
	v_fmamk_f16 v114, v34, 0x3a0c, v23
	v_fma_f16 v106, v118, 0xb93d, -v106
	v_add_f16_e32 v25, v111, v38
	v_mul_f16_e32 v115, 0xba0c, v113
	v_fmac_f16_e32 v23, 0xba0c, v34
	v_sub_f16_e32 v34, v111, v38
	v_mul_f16_e32 v38, 0xb93d, v22
	v_add_f16_e32 v10, v106, v10
	v_fmamk_f16 v111, v25, 0xb93d, v115
	v_add_f16_e32 v11, v23, v11
	v_mul_f16_e32 v106, 0x3beb, v113
	v_fmamk_f16 v23, v34, 0x3a0c, v38
	v_fmac_f16_e32 v38, 0xba0c, v34
	v_add_f16_e32 v62, v114, v62
	v_add_f16_e32 v32, v111, v32
	v_fma_f16 v111, v25, 0xb93d, -v115
	v_add_f16_e32 v23, v23, v33
	v_fmamk_f16 v33, v25, 0xb08e, v106
	v_mul_f16_e32 v114, 0xb08e, v22
	v_add_f16_e32 v37, v38, v37
	v_mul_f16_e32 v38, 0xb853, v113
	v_add_f16_e32 v26, v111, v26
	v_add_f16_e32 v33, v33, v41
	v_fmamk_f16 v41, v34, 0xbbeb, v114
	v_fma_f16 v106, v25, 0xb08e, -v106
	v_fmamk_f16 v111, v25, 0x3abb, v38
	v_mul_f16_e32 v115, 0x3abb, v22
	v_fma_f16 v38, v25, 0x3abb, -v38
	v_add_f16_e32 v41, v41, v58
	v_add_f16_e32 v24, v106, v24
	;; [unrolled: 1-line block ×3, first 2 shown]
	v_fmamk_f16 v105, v34, 0x3853, v115
	v_mul_f16_e32 v106, 0xb482, v113
	v_mul_f16_e32 v111, 0xbbad, v22
	v_add_f16_e32 v38, v38, v42
	v_mul_f16_e32 v113, 0x3b47, v113
	v_add_f16_e32 v59, v105, v59
	v_fmamk_f16 v105, v25, 0xbbad, v106
	v_fmamk_f16 v42, v34, 0x3482, v111
	v_fma_f16 v106, v25, 0xbbad, -v106
	v_fmac_f16_e32 v111, 0xb482, v34
	v_mul_f16_e32 v22, 0x36a6, v22
	v_fmac_f16_e32 v114, 0x3beb, v34
	v_add_f16_e32 v42, v42, v109
	v_fmamk_f16 v109, v25, 0x36a6, v113
	v_add_f16_e32 v106, v106, v107
	v_sub_f16_e32 v107, v20, v21
	v_add_f16_e32 v108, v111, v108
	v_add_f16_e32 v111, v35, v60
	v_add_f16_e32 v109, v109, v112
	v_add_f16_e32 v20, v20, v21
	v_mul_f16_e32 v112, 0xb482, v107
	v_fmac_f16_e32 v115, 0xb853, v34
	v_add_f16_e32 v105, v105, v110
	v_fmamk_f16 v110, v34, 0xbb47, v22
	v_fma_f16 v21, v25, 0x36a6, -v113
	v_fmac_f16_e32 v22, 0x3b47, v34
	v_sub_f16_e32 v25, v35, v60
	v_fmamk_f16 v34, v111, 0xbbad, v112
	v_mul_f16_e32 v35, 0xbbad, v20
	v_add_f16_e32 v60, v110, v62
	v_add_f16_e32 v10, v21, v10
	;; [unrolled: 1-line block ×4, first 2 shown]
	v_fmamk_f16 v22, v25, 0x3482, v35
	v_mul_f16_e32 v32, 0x3853, v107
	v_fma_f16 v34, v111, 0xbbad, -v112
	v_fmac_f16_e32 v35, 0xb482, v25
	v_mul_f16_e32 v62, 0x3abb, v20
	v_add_f16_e32 v22, v22, v23
	v_fmamk_f16 v23, v111, 0x3abb, v32
	v_add_f16_e32 v26, v34, v26
	v_add_f16_e32 v34, v35, v37
	v_fmamk_f16 v35, v25, 0xb853, v62
	v_mul_f16_e32 v37, 0xba0c, v107
	v_add_f16_e32 v36, v114, v36
	v_add_f16_e32 v23, v23, v33
	v_fma_f16 v32, v111, 0x3abb, -v32
	v_fmac_f16_e32 v62, 0x3853, v25
	v_add_f16_e32 v33, v35, v41
	v_fmamk_f16 v35, v111, 0xb93d, v37
	v_mul_f16_e32 v41, 0xb93d, v20
	v_add_f16_e32 v61, v115, v61
	v_add_f16_e32 v24, v32, v24
	;; [unrolled: 1-line block ×3, first 2 shown]
	v_mul_f16_e32 v36, 0x3b47, v107
	v_add_f16_e32 v35, v35, v58
	v_fmamk_f16 v58, v25, 0x3a0c, v41
	v_fma_f16 v37, v111, 0xb93d, -v37
	v_fmac_f16_e32 v41, 0xba0c, v25
	v_fmamk_f16 v62, v111, 0x36a6, v36
	v_mul_f16_e32 v110, 0x36a6, v20
	v_mul_f16_e32 v20, 0xb08e, v20
	v_add_f16_e32 v37, v37, v38
	v_add_f16_e32 v38, v41, v61
	v_mul_f16_e32 v61, 0xbbeb, v107
	v_add_f16_e32 v58, v58, v59
	v_add_f16_e32 v41, v62, v105
	v_fmamk_f16 v59, v25, 0xbb47, v110
	v_fmamk_f16 v105, v25, 0x3beb, v20
	;; [unrolled: 1-line block ×3, first 2 shown]
	v_fma_f16 v36, v111, 0x36a6, -v36
	v_fmac_f16_e32 v110, 0x3b47, v25
	v_fma_f16 v61, v111, 0xb08e, -v61
	v_fmac_f16_e32 v20, 0xbbeb, v25
	v_pack_b32_f16 v25, v27, v31
	v_pack_b32_f16 v21, v21, v22
	v_add_f16_e32 v42, v59, v42
	v_add_f16_e32 v22, v62, v109
	;; [unrolled: 1-line block ×7, first 2 shown]
	ds_store_2addr_b32 v63, v25, v21 offset1:84
	v_pack_b32_f16 v20, v23, v33
	v_pack_b32_f16 v21, v35, v58
	;; [unrolled: 1-line block ×9, first 2 shown]
	ds_store_2addr_b32 v63, v20, v21 offset0:168 offset1:252
	ds_store_2addr_b32 v45, v23, v22 offset0:80 offset1:164
	ds_store_2addr_b32 v57, v10, v11 offset0:120 offset1:204
	ds_store_2addr_b32 v46, v25, v24 offset0:160 offset1:244
	ds_store_b32 v63, v26 offset:3360
	s_and_saveexec_b32 s1, s0
	s_cbranch_execz .LBB0_29
; %bb.28:
	v_mul_f16_e64 v20, v169, v52
	v_mul_f16_e64 v10, v168, v44
	;; [unrolled: 1-line block ×5, first 2 shown]
	v_fmac_f16_e32 v20, v12, v1
	v_fmac_f16_e32 v10, v40, v43
	v_mul_f16_e64 v21, v165, v49
	v_fmac_f16_e32 v11, v39, v9
	v_mul_f16_e64 v9, v167, v9
	v_fma_f16 v1, v40, v44, -v22
	v_fma_f16 v12, v12, v52, -v23
	v_sub_f16_e32 v22, v20, v10
	v_fmac_f16_e32 v21, v13, v2
	v_mul_f16_e64 v23, v165, v2
	v_fma_f16 v2, v39, v56, -v9
	v_mul_f16_e64 v32, v163, v51
	v_mul_f16_e64 v9, v166, v55
	v_mul_f16_e32 v24, 0xb853, v22
	v_add_f16_e32 v25, v1, v12
	v_sub_f16_e32 v26, v21, v11
	v_fma_f16 v13, v13, v49, -v23
	v_fmac_f16_e32 v32, v14, v3
	v_fmac_f16_e32 v9, v19, v8
	v_mul_f16_e64 v8, v166, v8
	v_mul_f16_e64 v3, v163, v3
	;; [unrolled: 1-line block ×4, first 2 shown]
	v_fmamk_f16 v23, v25, 0x3abb, v24
	v_mul_f16_e32 v27, 0xbb47, v26
	v_add_f16_e32 v31, v2, v13
	v_sub_f16_e32 v36, v32, v9
	v_fma_f16 v8, v19, v55, -v8
	v_fma_f16 v3, v14, v51, -v3
	v_fmac_f16_e32 v34, v15, v4
	v_fmac_f16_e32 v35, v18, v7
	v_mul_f16_e64 v7, v164, v7
	v_mul_f16_e64 v4, v162, v4
	v_add_f16_e32 v23, v47, v23
	v_fmamk_f16 v33, v31, 0x36a6, v27
	v_mul_f16_e32 v14, 0xbbeb, v36
	v_add_f16_e32 v19, v8, v3
	v_sub_f16_e32 v37, v34, v35
	v_fma_f16 v7, v18, v54, -v7
	v_fma_f16 v4, v15, v53, -v4
	v_add_f16_e32 v15, v33, v23
	v_fmamk_f16 v18, v19, 0xb08e, v14
	v_mul_f16_e32 v23, 0xba0c, v37
	v_mul_f16_e64 v38, v160, v48
	v_add_f16_e32 v33, v7, v4
	v_mul_f16_e64 v39, v161, v50
	v_add_f16_e32 v15, v18, v15
	v_add_f16_e32 v40, v10, v20
	v_fmac_f16_e32 v38, v16, v5
	v_fmamk_f16 v18, v33, 0xb93d, v23
	v_fmac_f16_e32 v39, v17, v6
	v_mul_f16_e64 v6, v161, v6
	v_mul_f16_e64 v5, v160, v5
	v_sub_f16_e32 v43, v13, v2
	v_add_f16_e32 v15, v18, v15
	v_sub_f16_e32 v18, v12, v1
	v_sub_f16_e32 v42, v38, v39
	v_fma_f16 v6, v17, v50, -v6
	v_fma_f16 v5, v16, v48, -v5
	v_add_f16_e32 v17, v11, v21
	v_mul_f16_e32 v41, 0xb853, v18
	v_mul_f16_e32 v45, 0xb482, v42
	;; [unrolled: 1-line block ×3, first 2 shown]
	v_add_f16_e32 v48, v6, v5
	v_sub_f16_e32 v46, v3, v8
	v_fma_f16 v16, v40, 0x3abb, -v41
	v_add_f16_e32 v50, v9, v32
	v_fma_f16 v49, v17, 0x36a6, -v44
	v_fmamk_f16 v52, v48, 0xbbad, v45
	v_mul_f16_e32 v51, 0xbbeb, v46
	v_add_f16_e32 v16, v0, v16
	v_mul_f16_e32 v57, 0xba0c, v26
	v_add_f16_e32 v54, v35, v34
	v_add_f16_e32 v15, v52, v15
	v_mul_f16_e32 v52, 0xbb47, v22
	v_add_f16_e32 v16, v49, v16
	v_sub_f16_e32 v49, v4, v7
	v_fma_f16 v53, v50, 0xb08e, -v51
	v_fmamk_f16 v61, v31, 0xb93d, v57
	v_fmamk_f16 v56, v25, 0x36a6, v52
	v_mul_f16_e32 v62, 0x3482, v36
	v_mul_f16_e32 v55, 0xba0c, v49
	v_add_f16_e32 v16, v53, v16
	v_sub_f16_e32 v53, v5, v6
	v_add_f16_e32 v56, v47, v56
	v_add_f16_e32 v59, v39, v38
	v_fma_f16 v58, v54, 0xb93d, -v55
	v_mul_f16_e32 v106, 0x3beb, v37
	v_mul_f16_e32 v60, 0xb482, v53
	v_add_f16_e32 v56, v61, v56
	v_fmamk_f16 v61, v19, 0xbbad, v62
	v_add_f16_e32 v16, v58, v16
	v_mul_f16_e32 v105, 0xbb47, v18
	v_fma_f16 v58, v59, 0xbbad, -v60
	v_mul_f16_e32 v108, 0x3853, v42
	v_add_f16_e32 v56, v61, v56
	v_fmamk_f16 v61, v33, 0xb08e, v106
	v_mul_f16_e32 v107, 0xba0c, v43
	v_add_f16_e32 v16, v58, v16
	v_fma_f16 v58, v40, 0x36a6, -v105
	v_mul_f16_e32 v111, 0xbbeb, v22
	v_add_f16_e32 v56, v61, v56
	v_fmamk_f16 v61, v48, 0x3abb, v108
	v_fma_f16 v109, v17, 0xb93d, -v107
	v_add_f16_e32 v58, v0, v58
	v_mul_f16_e32 v110, 0x3482, v46
	v_mul_f16_e32 v113, 0x3482, v26
	v_add_f16_e32 v56, v61, v56
	v_fmamk_f16 v61, v25, 0xb08e, v111
	v_add_f16_e32 v58, v109, v58
	v_fma_f16 v109, v50, 0xbbad, -v110
	v_mul_f16_e32 v112, 0x3beb, v49
	v_fmamk_f16 v115, v31, 0xbbad, v113
	v_add_f16_e32 v61, v47, v61
	v_mul_f16_e32 v116, 0x3b47, v36
	v_add_f16_e32 v58, v109, v58
	v_fma_f16 v109, v54, 0xb08e, -v112
	v_mul_f16_e32 v114, 0x3853, v53
	v_add_f16_e32 v61, v115, v61
	v_fmamk_f16 v115, v19, 0x36a6, v116
	v_mul_f16_e32 v118, 0xb853, v37
	v_add_f16_e32 v58, v109, v58
	v_fma_f16 v109, v59, 0x3abb, -v114
	v_mul_f16_e32 v117, 0xbbeb, v18
	v_add_f16_e32 v61, v115, v61
	v_fmamk_f16 v115, v33, 0x3abb, v118
	v_mul_f16_e32 v120, 0xba0c, v42
	v_add_f16_e32 v58, v109, v58
	v_fma_f16 v109, v40, 0xb08e, -v117
	v_mul_f16_e32 v119, 0x3482, v43
	v_add_f16_e32 v61, v115, v61
	v_fmamk_f16 v115, v48, 0xb93d, v120
	v_mul_f16_e32 v123, 0xba0c, v22
	v_add_f16_e32 v109, v0, v109
	v_fma_f16 v121, v17, 0xbbad, -v119
	v_mul_f16_e32 v122, 0x3b47, v46
	v_add_f16_e32 v61, v115, v61
	v_fmamk_f16 v115, v25, 0xb93d, v123
	v_mul_f16_e32 v125, 0x3beb, v26
	v_add_f16_e32 v109, v121, v109
	v_fma_f16 v121, v50, 0x36a6, -v122
	v_mul_f16_e32 v124, 0xb853, v49
	v_add_f16_e32 v115, v47, v115
	v_fmamk_f16 v127, v31, 0xb08e, v125
	v_mul_f16_e64 v128, 0xb853, v36
	v_add_f16_e32 v109, v121, v109
	v_fma_f16 v121, v54, 0x3abb, -v124
	v_mul_f16_e32 v126, 0xba0c, v53
	v_add_f16_e32 v115, v127, v115
	v_fma_f16 v127, 0x3abb, v19, v128
	v_mul_f16_e64 v130, 0xb482, v37
	v_add_f16_e32 v109, v121, v109
	v_fma_f16 v121, v59, 0xb93d, -v126
	v_mul_f16_e64 v129, 0xba0c, v18
	v_add_f16_e32 v115, v127, v115
	v_fma_f16 v127, 0xbbad, v33, v130
	v_mul_f16_e64 v132, 0x3b47, v42
	v_add_f16_e32 v109, v121, v109
	v_fma_f16 v121, v40, 0xb93d, -v129
	v_mul_f16_e64 v131, 0x3beb, v43
	v_add_f16_e32 v115, v127, v115
	v_fma_f16 v127, 0x36a6, v48, v132
	v_mul_f16_e32 v22, 0xb482, v22
	v_add_f16_e32 v121, v0, v121
	v_fma_f16 v133, v17, 0xb08e, -v131
	v_mul_f16_e64 v134, 0xb853, v46
	v_add_f16_e32 v115, v127, v115
	v_fmamk_f16 v127, v25, 0xbbad, v22
	v_mul_f16_e32 v26, 0x3853, v26
	v_fma_f16 v22, v25, 0xbbad, -v22
	v_add_f16_e64 v121, v133, v121
	v_fma_f16 v133, v50, 0x3abb, -v134
	v_mul_f16_e64 v135, 0xb482, v49
	v_add_f16_e32 v127, v47, v127
	v_fma_f16 v137, 0x3abb, v31, v26
	v_mul_f16_e32 v36, 0xba0c, v36
	v_add_f16_e32 v22, v47, v22
	v_fma_f16 v26, v31, 0x3abb, -v26
	v_add_f16_e64 v121, v133, v121
	v_fma_f16 v133, v54, 0xbbad, -v135
	v_mul_f16_e64 v136, 0x3b47, v53
	v_add_f16_e64 v127, v137, v127
	v_fma_f16 v137, 0xb93d, v19, v36
	v_mul_f16_e32 v37, 0x3b47, v37
	v_add_f16_e32 v22, v26, v22
	v_fma_f16 v26, v19, 0xb93d, -v36
	v_add_f16_e64 v121, v133, v121
	v_fma_f16 v133, v59, 0x36a6, -v136
	v_mul_f16_e32 v18, 0xb482, v18
	v_add_f16_e64 v127, v137, v127
	v_fma_f16 v137, 0x36a6, v33, v37
	v_mul_f16_e32 v42, 0xbbeb, v42
	v_add_f16_e32 v22, v26, v22
	v_fma_f16 v26, v33, 0x36a6, -v37
	v_fma_f16 v37, v25, 0xb93d, -v123
	v_add_f16_e64 v121, v133, v121
	v_fma_f16 v133, v40, 0xbbad, -v18
	v_mul_f16_e32 v43, 0x3853, v43
	v_add_f16_e64 v127, v137, v127
	v_fma_f16 v137, 0xb08e, v48, v42
	v_fmac_f16_e32 v18, 0xbbad, v40
	v_add_f16_e32 v22, v26, v22
	v_fma_f16 v26, v48, 0xb08e, -v42
	v_add_f16_e32 v37, v47, v37
	v_fma_f16 v42, v31, 0xb08e, -v125
	v_add_f16_e64 v133, v0, v133
	v_fma_f16 v138, v17, 0x3abb, -v43
	v_mul_f16_e32 v46, 0xba0c, v46
	v_add_f16_e32 v18, v0, v18
	v_fmac_f16_e32 v43, 0x3abb, v17
	v_add_f16_e32 v22, v26, v22
	v_add_f16_e32 v26, v42, v37
	v_fma_f16 v37, v19, 0x3abb, -v128
	v_add_f16_e64 v133, v138, v133
	v_fma_f16 v138, v50, 0xb93d, -v46
	v_add_f16_e32 v18, v43, v18
	v_fmac_f16_e32 v46, 0xb93d, v50
	v_add_f16_e32 v26, v37, v26
	v_fma_f16 v37, v25, 0xb08e, -v111
	v_add_f16_e32 v20, v0, v20
	v_add_f16_e32 v12, v12, v47
	v_mul_f16_e32 v49, 0x3b47, v49
	v_add_f16_e32 v18, v46, v18
	v_fma_f16 v43, v33, 0xbbad, -v130
	v_add_f16_e32 v37, v47, v37
	v_fma_f16 v46, v31, 0xbbad, -v113
	v_add_f16_e32 v20, v21, v20
	v_add_f16_e32 v12, v13, v12
	v_add_f16_e64 v127, v137, v127
	v_add_f16_e64 v133, v138, v133
	v_fma_f16 v137, v54, 0x36a6, -v49
	v_mul_f16_e32 v53, 0xbbeb, v53
	v_fmac_f16_e32 v49, 0x36a6, v54
	v_add_f16_e32 v26, v43, v26
	v_add_f16_e32 v37, v46, v37
	v_fma_f16 v43, v19, 0x36a6, -v116
	v_add_f16_e32 v20, v32, v20
	v_add_f16_e32 v3, v3, v12
	v_add_f16_e64 v36, v137, v133
	v_fma_f16 v133, v59, 0xb08e, -v53
	v_add_f16_e32 v18, v49, v18
	v_fmac_f16_e32 v53, 0xb08e, v59
	v_add_f16_e32 v37, v43, v37
	v_fma_f16 v43, v33, 0x3abb, -v118
	v_fma_f16 v12, v25, 0x3abb, -v24
	v_add_f16_e32 v20, v34, v20
	v_add_f16_e32 v3, v4, v3
	v_fmac_f16_e64 v129, 0xb93d, v40
	v_add_f16_e32 v18, v53, v18
	v_fmac_f16_e32 v117, 0xb08e, v40
	v_fma_f16 v52, v25, 0x36a6, -v52
	v_add_f16_e32 v37, v43, v37
	v_fma_f16 v53, v48, 0xb93d, -v120
	v_fmac_f16_e32 v105, 0x36a6, v40
	v_fmac_f16_e32 v41, 0x3abb, v40
	v_add_f16_e32 v4, v47, v12
	v_fma_f16 v12, v31, 0x36a6, -v27
	v_add_f16_e32 v20, v38, v20
	v_add_f16_e32 v3, v5, v3
	v_add_f16_e64 v42, v0, v129
	v_add_f16_e32 v49, v0, v117
	v_add_f16_e32 v43, v47, v52
	v_fma_f16 v52, v31, 0xb93d, -v57
	v_add_f16_e32 v37, v53, v37
	v_add_f16_e32 v53, v0, v105
	v_add_f16_e32 v0, v0, v41
	v_fmac_f16_e32 v44, 0x36a6, v17
	v_add_f16_e32 v4, v12, v4
	v_fma_f16 v5, v19, 0xb08e, -v14
	v_add_f16_e32 v12, v39, v20
	v_add_f16_e32 v3, v6, v3
	v_fmac_f16_e32 v119, 0xbbad, v17
	v_add_f16_e32 v43, v52, v43
	v_fma_f16 v52, v19, 0xbbad, -v62
	v_fmac_f16_e32 v107, 0xb93d, v17
	v_add_f16_e32 v0, v44, v0
	v_fmac_f16_e32 v51, 0xb08e, v50
	v_add_f16_e32 v4, v5, v4
	v_add_f16_e32 v5, v35, v12
	;; [unrolled: 1-line block ×3, first 2 shown]
	v_fmac_f16_e64 v131, 0xb08e, v17
	v_add_f16_e32 v49, v119, v49
	v_fmac_f16_e32 v122, 0x36a6, v50
	v_add_f16_e32 v43, v52, v43
	v_fma_f16 v52, v33, 0xb08e, -v106
	v_add_f16_e32 v53, v107, v53
	v_fmac_f16_e32 v110, 0xbbad, v50
	v_fma_f16 v6, v33, 0xb93d, -v23
	v_add_f16_e32 v0, v51, v0
	v_fmac_f16_e32 v55, 0xb93d, v54
	v_add_f16_e32 v5, v9, v5
	v_add_f16_e32 v3, v8, v3
	v_add_f16_e64 v42, v131, v42
	v_fmac_f16_e64 v134, 0x3abb, v50
	v_add_f16_e32 v49, v122, v49
	v_fmac_f16_e32 v124, 0x3abb, v54
	v_add_f16_e32 v13, v52, v43
	v_add_f16_e32 v43, v110, v53
	v_fmac_f16_e32 v112, 0xb08e, v54
	v_add_f16_e32 v4, v6, v4
	v_fma_f16 v6, v48, 0xbbad, -v45
	v_add_f16_e32 v0, v55, v0
	v_add_f16_e32 v5, v11, v5
	;; [unrolled: 1-line block ×3, first 2 shown]
	v_fmac_f16_e32 v60, 0xbbad, v59
	v_add_f16_e64 v42, v134, v42
	v_fmac_f16_e64 v135, 0xbbad, v54
	v_add_f16_e32 v49, v124, v49
	v_fma_f16 v21, v48, 0x3abb, -v108
	v_add_f16_e32 v3, v112, v43
	v_add_f16_e32 v4, v6, v4
	;; [unrolled: 1-line block ×5, first 2 shown]
	v_fmac_f16_e32 v114, 0x3abb, v59
	v_fmac_f16_e32 v126, 0xb93d, v59
	v_fma_f16 v46, v48, 0x36a6, -v132
	v_add_f16_e64 v42, v135, v42
	v_fmac_f16_e64 v136, 0x36a6, v59
	v_add_f16_e32 v2, v21, v13
	v_pack_b32_f16 v1, v5, v1
	v_pack_b32_f16 v0, v0, v4
	v_add_f16_e32 v3, v114, v3
	v_add_f16_e32 v4, v126, v49
	;; [unrolled: 1-line block ×3, first 2 shown]
	v_add_f16_e64 v6, v136, v42
	v_add_f16_e64 v36, v133, v36
	ds_store_2addr_b32 v63, v1, v0 offset0:44 offset1:128
	v_pack_b32_f16 v0, v3, v2
	v_pack_b32_f16 v1, v4, v37
	v_add_nc_u32_e32 v2, 0x200, v63
	v_pack_b32_f16 v3, v6, v5
	v_pack_b32_f16 v4, v18, v22
	v_add_nc_u32_e32 v5, 0x400, v63
	;; [unrolled: 3-line block ×4, first 2 shown]
	v_pack_b32_f16 v12, v16, v15
	ds_store_2addr_b32 v2, v0, v1 offset0:84 offset1:168
	ds_store_2addr_b32 v5, v3, v4 offset0:124 offset1:208
	;; [unrolled: 1-line block ×4, first 2 shown]
	ds_store_b32 v63, v12 offset:3536
.LBB0_29:
	s_wait_alu 0xfffe
	s_or_b32 exec_lo, exec_lo, s1
	global_wb scope:SCOPE_SE
	s_wait_dscnt 0x0
	s_barrier_signal -1
	s_barrier_wait -1
	global_inv scope:SCOPE_SE
	ds_load_2addr_b32 v[1:2], v63 offset1:44
	v_add_nc_u32_e32 v0, 0x400, v63
	s_mov_b32 s6, 0x4046ed29
	s_mov_b32 s7, 0x3f51bb4a
	v_mad_co_u64_u32 v[15:16], null, s8, v96, 0
	ds_load_2addr_b32 v[3:4], v0 offset0:206 offset1:250
	s_wait_dscnt 0x1
	v_lshrrev_b32_e32 v5, 16, v1
	v_mul_f16_e32 v6, v104, v1
	v_lshrrev_b32_e32 v13, 16, v2
	s_delay_alu instid0(VALU_DEP_3) | instskip(NEXT) | instid1(VALU_DEP_3)
	v_mul_f16_e32 v7, v104, v5
	v_fma_f16 v5, v100, v5, -v6
	s_wait_dscnt 0x0
	v_lshrrev_b32_e32 v9, 16, v3
	v_mul_f16_e32 v8, v103, v3
	v_mul_f16_e32 v10, v102, v13
	v_fmac_f16_e32 v7, v100, v1
	v_cvt_f32_f16_e32 v1, v5
	v_mul_f16_e32 v14, v103, v9
	s_delay_alu instid0(VALU_DEP_4) | instskip(NEXT) | instid1(VALU_DEP_4)
	v_fmac_f16_e32 v10, v99, v2
	v_cvt_f32_f16_e32 v7, v7
	s_delay_alu instid0(VALU_DEP_4)
	v_cvt_f64_f32_e32 v[5:6], v1
	v_fma_f16 v1, v101, v9, -v8
	v_fmac_f16_e32 v14, v101, v3
	v_cvt_f32_f16_e32 v11, v10
	v_mul_f16_e32 v3, v102, v2
	v_cvt_f64_f32_e32 v[7:8], v7
	v_cvt_f32_f16_e32 v1, v1
	s_delay_alu instid0(VALU_DEP_4) | instskip(NEXT) | instid1(VALU_DEP_4)
	v_cvt_f64_f32_e32 v[11:12], v11
	v_fma_f16 v3, v99, v13, -v3
	s_delay_alu instid0(VALU_DEP_3) | instskip(SKIP_2) | instid1(VALU_DEP_4)
	v_cvt_f64_f32_e32 v[9:10], v1
	v_cvt_f32_f16_e32 v1, v14
	v_mad_co_u64_u32 v[13:14], null, s10, v30, 0
	v_cvt_f32_f16_e32 v3, v3
	s_delay_alu instid0(VALU_DEP_3) | instskip(NEXT) | instid1(VALU_DEP_2)
	v_cvt_f64_f32_e32 v[1:2], v1
	v_cvt_f64_f32_e32 v[17:18], v3
	s_delay_alu instid0(VALU_DEP_4) | instskip(NEXT) | instid1(VALU_DEP_1)
	v_mov_b32_e32 v3, v14
	v_mad_co_u64_u32 v[19:20], null, s11, v30, v[3:4]
	v_lshrrev_b32_e32 v3, 16, v4
	s_wait_alu 0xfffe
	v_mul_f64_e32 v[5:6], s[6:7], v[5:6]
	v_mul_f64_e32 v[7:8], s[6:7], v[7:8]
	v_mul_f64_e32 v[11:12], s[6:7], v[11:12]
	v_mul_f64_e32 v[9:10], s[6:7], v[9:10]
	v_mul_f64_e32 v[1:2], s[6:7], v[1:2]
	v_mul_f64_e32 v[17:18], s[6:7], v[17:18]
	v_and_or_b32 v5, 0x1ff, v6, v5
	v_and_or_b32 v7, 0x1ff, v8, v7
	v_bfe_u32 v22, v8, 20, 11
	v_and_or_b32 v11, 0x1ff, v12, v11
	v_lshrrev_b32_e32 v26, 8, v12
	v_bfe_u32 v27, v12, 20, 11
	v_bfe_u32 v25, v10, 20, 11
	v_mov_b32_e32 v14, v16
	v_and_or_b32 v9, 0x1ff, v10, v9
	v_sub_nc_u32_e32 v30, 0x3f1, v22
	v_lshrrev_b32_e32 v24, 8, v10
	v_sub_nc_u32_e32 v32, 0x3f1, v25
	v_add_nc_u32_e32 v25, 0xfffffc10, v25
	v_mad_co_u64_u32 v[20:21], null, s9, v96, v[14:15]
	v_bfe_u32 v31, v2, 20, 11
	v_mov_b32_e32 v14, v19
	v_mul_f16_e32 v19, v98, v3
	v_lshrrev_b32_e32 v21, 8, v8
	v_and_or_b32 v1, 0x1ff, v2, v1
	v_sub_nc_u32_e32 v34, 0x3f1, v31
	v_dual_mov_b32 v16, v20 :: v_dual_add_nc_u32 v31, 0xfffffc10, v31
	v_lshlrev_b64_e32 v[13:14], 2, v[13:14]
	v_fmac_f16_e32 v19, v94, v4
	v_bfe_u32 v20, v6, 20, 11
	v_add_nc_u32_e32 v22, 0xfffffc10, v22
	v_lshlrev_b64_e32 v[15:16], 2, v[15:16]
	v_lshrrev_b32_e32 v8, 16, v8
	v_add_co_u32 v13, s0, s4, v13
	s_wait_alu 0xf1ff
	v_add_co_ci_u32_e64 v14, s0, s5, v14, s0
	v_cvt_f32_f16_e32 v19, v19
	s_delay_alu instid0(VALU_DEP_3) | instskip(SKIP_1) | instid1(VALU_DEP_3)
	v_add_co_u32 v13, s0, v13, v15
	s_wait_alu 0xf1ff
	v_add_co_ci_u32_e64 v14, s0, v14, v16, s0
	v_cmp_ne_u32_e64 s0, 0, v5
	v_cvt_f64_f32_e32 v[15:16], v19
	v_lshrrev_b32_e32 v19, 8, v6
	v_sub_nc_u32_e32 v23, 0x3f1, v20
	v_add_nc_u32_e32 v20, 0xfffffc10, v20
	s_wait_alu 0xf1ff
	v_cndmask_b32_e64 v5, 0, 1, s0
	v_cmp_ne_u32_e64 s0, 0, v7
	v_cmp_gt_i32_e64 s4, 1, v31
	v_lshrrev_b32_e32 v6, 16, v6
	v_lshrrev_b32_e32 v12, 16, v12
	v_and_or_b32 v5, 0xffe, v19, v5
	s_wait_alu 0xf1ff
	v_cndmask_b32_e64 v7, 0, 1, s0
	v_cmp_ne_u32_e64 s0, 0, v9
	v_med3_i32 v19, v23, 0, 13
	v_lshrrev_b32_e32 v23, 8, v2
	v_lshl_or_b32 v33, v20, 12, v5
	v_and_or_b32 v7, 0xffe, v21, v7
	s_wait_alu 0xf1ff
	v_cndmask_b32_e64 v9, 0, 1, s0
	v_cmp_ne_u32_e64 s0, 0, v11
	v_med3_i32 v21, v30, 0, 13
	v_or_b32_e32 v30, 0x1000, v5
	v_lshl_or_b32 v35, v22, 12, v7
	v_and_or_b32 v9, 0xffe, v24, v9
	s_wait_alu 0xf1ff
	v_cndmask_b32_e64 v11, 0, 1, s0
	v_cmp_ne_u32_e64 s0, 0, v5
	v_med3_i32 v24, v32, 0, 13
	v_or_b32_e32 v32, 0x1000, v7
	v_lshrrev_b32_e32 v36, v19, v30
	v_lshl_or_b32 v37, v25, 12, v9
	s_wait_alu 0xf1ff
	v_cndmask_b32_e64 v5, 0, 1, s0
	v_cmp_ne_u32_e64 s0, 0, v1
	v_lshrrev_b32_e32 v38, v21, v32
	v_lshlrev_b32_e32 v19, v19, v36
	v_and_or_b32 v11, 0xffe, v26, v11
	v_lshl_or_b32 v5, v5, 9, 0x7c00
	s_wait_alu 0xf1ff
	v_cndmask_b32_e64 v1, 0, 1, s0
	v_cmp_ne_u32_e64 s0, 0, v7
	v_lshlrev_b32_e32 v21, v21, v38
	v_lshrrev_b32_e32 v2, 16, v2
	s_delay_alu instid0(VALU_DEP_4)
	v_and_or_b32 v1, 0xffe, v23, v1
	s_wait_alu 0xf1ff
	v_cndmask_b32_e64 v7, 0, 1, s0
	v_med3_i32 v23, v34, 0, 13
	v_or_b32_e32 v34, 0x1000, v9
	v_cmp_ne_u32_e64 s0, 0, v1
	v_or_b32_e32 v39, 0x1000, v1
	v_lshl_or_b32 v40, v31, 12, v1
	s_delay_alu instid0(VALU_DEP_4)
	v_lshrrev_b32_e32 v41, v24, v34
	v_lshl_or_b32 v7, v7, 9, 0x7c00
	s_wait_alu 0xf1ff
	v_cndmask_b32_e64 v1, 0, 1, s0
	v_cmp_ne_u32_e64 s0, v19, v30
	v_lshrrev_b32_e32 v30, v23, v39
	v_lshlrev_b32_e32 v24, v24, v41
	s_delay_alu instid0(VALU_DEP_4) | instskip(SKIP_4) | instid1(VALU_DEP_3)
	v_lshl_or_b32 v1, v1, 9, 0x7c00
	s_wait_alu 0xf1ff
	v_cndmask_b32_e64 v19, 0, 1, s0
	v_cmp_ne_u32_e64 s0, v21, v32
	v_lshlrev_b32_e32 v23, v23, v30
	v_or_b32_e32 v19, v36, v19
	s_wait_alu 0xf1ff
	s_delay_alu instid0(VALU_DEP_3) | instskip(SKIP_1) | instid1(VALU_DEP_2)
	v_cndmask_b32_e64 v21, 0, 1, s0
	v_cmp_ne_u32_e64 s0, v24, v34
	v_or_b32_e32 v21, v38, v21
	s_wait_alu 0xf1ff
	s_delay_alu instid0(VALU_DEP_2) | instskip(SKIP_1) | instid1(VALU_DEP_2)
	v_cndmask_b32_e64 v24, 0, 1, s0
	v_cmp_gt_i32_e64 s0, 1, v20
	v_or_b32_e32 v24, v41, v24
	s_wait_alu 0xf1ff
	s_delay_alu instid0(VALU_DEP_2) | instskip(SKIP_1) | instid1(VALU_DEP_2)
	v_cndmask_b32_e64 v19, v33, v19, s0
	v_cmp_ne_u32_e64 s0, v23, v39
	v_and_b32_e32 v32, 7, v19
	s_wait_alu 0xf1ff
	s_delay_alu instid0(VALU_DEP_2) | instskip(SKIP_3) | instid1(VALU_DEP_4)
	v_cndmask_b32_e64 v23, 0, 1, s0
	v_cmp_gt_i32_e64 s0, 1, v22
	v_lshrrev_b32_e32 v19, 2, v19
	v_cmp_eq_u32_e64 s3, 3, v32
	v_or_b32_e32 v23, v30, v23
	s_wait_alu 0xf1ff
	v_cndmask_b32_e64 v21, v35, v21, s0
	v_cmp_gt_i32_e64 s0, 1, v25
	s_delay_alu instid0(VALU_DEP_3) | instskip(NEXT) | instid1(VALU_DEP_3)
	v_cndmask_b32_e64 v23, v40, v23, s4
	v_and_b32_e32 v30, 7, v21
	s_wait_alu 0xf1ff
	s_delay_alu instid0(VALU_DEP_3)
	v_cndmask_b32_e64 v24, v37, v24, s0
	v_cmp_lt_i32_e64 s0, 5, v32
	v_lshrrev_b32_e32 v21, 2, v21
	v_and_b32_e32 v32, 7, v23
	v_cmp_lt_i32_e64 s1, 5, v30
	v_cmp_eq_u32_e64 s2, 3, v30
	s_or_b32 s0, s3, s0
	v_cmp_eq_u32_e64 s3, 0x40f, v20
	s_wait_alu 0xfffe
	v_add_co_ci_u32_e64 v19, s0, 0, v19, s0
	s_or_b32 s1, s2, s1
	v_cmp_gt_i32_e64 s0, 31, v22
	s_wait_alu 0xfffe
	v_add_co_ci_u32_e64 v21, s1, 0, v21, s1
	v_cmp_eq_u32_e64 s1, 0x40f, v22
	v_lshrrev_b32_e32 v23, 2, v23
	v_and_b32_e32 v30, 7, v24
	s_wait_alu 0xf1ff
	v_cndmask_b32_e64 v21, 0x7c00, v21, s0
	v_cmp_gt_i32_e64 s0, 31, v20
	s_delay_alu instid0(VALU_DEP_3) | instskip(NEXT) | instid1(VALU_DEP_3)
	v_cmp_lt_i32_e64 s2, 5, v30
	v_cndmask_b32_e64 v7, v21, v7, s1
	s_wait_alu 0xf1ff
	s_delay_alu instid0(VALU_DEP_3) | instskip(SKIP_3) | instid1(VALU_DEP_4)
	v_cndmask_b32_e64 v19, 0x7c00, v19, s0
	v_cmp_lt_i32_e64 s0, 5, v32
	v_cmp_eq_u32_e64 s1, 3, v32
	v_and_or_b32 v7, 0x8000, v8, v7
	v_cndmask_b32_e64 v5, v19, v5, s3
	v_or_b32_e32 v19, 0x1000, v11
	s_delay_alu instid0(VALU_DEP_4)
	s_or_b32 s0, s1, s0
	v_cmp_gt_i32_e64 s1, 31, v31
	s_wait_alu 0xfffe
	v_add_co_ci_u32_e64 v8, s0, 0, v23, s0
	v_cmp_eq_u32_e64 s0, 3, v30
	v_and_or_b32 v5, 0x8000, v6, v5
	v_and_b32_e32 v6, 0xffff, v7
	v_lshrrev_b32_e32 v7, 2, v24
	s_wait_alu 0xf1ff
	v_cndmask_b32_e64 v8, 0x7c00, v8, s1
	s_or_b32 s0, s0, s2
	v_lshl_or_b32 v5, v5, 16, v6
	s_wait_alu 0xfffe
	v_add_co_ci_u32_e64 v6, s0, 0, v7, s0
	v_cmp_ne_u32_e64 s0, 0, v9
	v_sub_nc_u32_e32 v7, 0x3f1, v27
	global_store_b32 v[13:14], v5, off
	s_wait_alu 0xf1ff
	v_cndmask_b32_e64 v9, 0, 1, s0
	v_cmp_gt_i32_e64 s0, 31, v25
	v_med3_i32 v7, v7, 0, 13
	s_delay_alu instid0(VALU_DEP_3) | instskip(SKIP_1) | instid1(VALU_DEP_3)
	v_lshl_or_b32 v9, v9, 9, 0x7c00
	s_wait_alu 0xf1ff
	v_cndmask_b32_e64 v6, 0x7c00, v6, s0
	v_cmp_eq_u32_e64 s0, 0x40f, v31
	s_wait_alu 0xf1ff
	s_delay_alu instid0(VALU_DEP_1) | instskip(SKIP_2) | instid1(VALU_DEP_2)
	v_cndmask_b32_e64 v1, v8, v1, s0
	v_lshrrev_b32_e32 v8, v7, v19
	v_cmp_eq_u32_e64 s0, 0x40f, v25
	v_lshlrev_b32_e32 v5, v7, v8
	s_wait_alu 0xf1ff
	s_delay_alu instid0(VALU_DEP_2)
	v_cndmask_b32_e64 v6, v6, v9, s0
	v_and_or_b32 v7, 0x8000, v2, v1
	v_and_or_b32 v1, 0x1ff, v18, v17
	v_mul_f16_e32 v2, v98, v4
	v_cmp_ne_u32_e64 s0, v5, v19
	v_lshrrev_b32_e32 v9, 16, v10
	v_add_nc_u32_e32 v17, 0xfffffc10, v27
	v_bfe_u32 v10, v18, 20, 11
	v_fma_f16 v3, v94, v3, -v2
	s_wait_alu 0xf1ff
	v_cndmask_b32_e64 v4, 0, 1, s0
	v_cmp_ne_u32_e64 s0, 0, v1
	v_and_or_b32 v9, 0x8000, v9, v6
	v_mul_f64_e32 v[1:2], s[6:7], v[15:16]
	v_lshrrev_b32_e32 v6, 8, v18
	v_cvt_f32_f16_e32 v15, v3
	s_wait_alu 0xf1ff
	v_cndmask_b32_e64 v5, 0, 1, s0
	v_or_b32_e32 v8, v8, v4
	v_lshl_or_b32 v16, v17, 12, v11
	v_sub_nc_u32_e32 v20, 0x3f1, v10
	v_cmp_gt_i32_e64 s0, 1, v17
	v_and_or_b32 v19, 0xffe, v6, v5
	v_cvt_f64_f32_e32 v[5:6], v15
	ds_load_2addr_b32 v[3:4], v63 offset0:88 offset1:132
	v_med3_i32 v20, v20, 0, 13
	s_wait_alu 0xf1ff
	v_cndmask_b32_e64 v15, v16, v8, s0
	v_or_b32_e32 v16, 0x1000, v19
	v_and_b32_e32 v7, 0xffff, v7
	s_mul_u64 s[0:1], s[8:9], 0x1ce
	s_wait_alu 0xfffe
	s_lshl_b64 s[4:5], s[0:1], 2
	v_lshrrev_b32_e32 v22, v20, v16
	v_lshl_or_b32 v21, v9, 16, v7
	v_and_b32_e32 v9, 7, v15
	s_wait_alu 0xfffe
	v_add_co_u32 v7, s0, v13, s4
	v_lshlrev_b32_e32 v13, v20, v22
	s_wait_alu 0xf1ff
	v_add_co_ci_u32_e64 v8, s0, s5, v14, s0
	v_cmp_lt_i32_e64 s0, 5, v9
	v_cmp_eq_u32_e64 s1, 3, v9
	v_lshrrev_b32_e32 v9, 2, v15
	v_cmp_ne_u32_e64 s2, v13, v16
	v_add_nc_u32_e32 v15, 0xfffffc10, v10
	s_wait_dscnt 0x0
	v_lshrrev_b32_e32 v14, 16, v3
	s_or_b32 s0, s1, s0
	global_store_b32 v[7:8], v21, off
	s_wait_alu 0xfffe
	v_add_co_ci_u32_e64 v16, s0, 0, v9, s0
	v_cndmask_b32_e64 v13, 0, 1, s2
	v_cmp_ne_u32_e64 s0, 0, v11
	v_and_or_b32 v1, 0x1ff, v2, v1
	v_mul_f16_e32 v10, v97, v14
	v_lshrrev_b32_e32 v20, 8, v2
	v_or_b32_e32 v9, v22, v13
	v_lshl_or_b32 v13, v15, 12, v19
	s_wait_alu 0xf1ff
	v_cndmask_b32_e64 v11, 0, 1, s0
	v_cmp_gt_i32_e64 s0, 1, v15
	v_fmac_f16_e32 v10, v93, v3
	v_bfe_u32 v22, v2, 20, 11
	v_mul_f64_e32 v[5:6], s[6:7], v[5:6]
	v_lshl_or_b32 v11, v11, 9, 0x7c00
	s_wait_alu 0xf1ff
	v_cndmask_b32_e64 v13, v13, v9, s0
	v_cmp_ne_u32_e64 s0, 0, v1
	v_cvt_f32_f16_e32 v9, v10
	v_mul_f16_e32 v3, v97, v3
	v_lshrrev_b32_e32 v2, 16, v2
	v_and_b32_e32 v23, 7, v13
	s_wait_alu 0xf1ff
	v_cndmask_b32_e64 v1, 0, 1, s0
	v_cmp_gt_i32_e64 s0, 31, v17
	v_cvt_f64_f32_e32 v[9:10], v9
	v_lshrrev_b32_e32 v13, 2, v13
	v_cmp_eq_u32_e64 s1, 3, v23
	v_and_or_b32 v20, 0xffe, v20, v1
	s_wait_alu 0xf1ff
	v_cndmask_b32_e64 v16, 0x7c00, v16, s0
	v_cmp_eq_u32_e64 s0, 0x40f, v17
	v_sub_nc_u32_e32 v1, 0x3f1, v22
	v_fma_f16 v3, v93, v14, -v3
	s_wait_alu 0xf1ff
	s_delay_alu instid0(VALU_DEP_3)
	v_cndmask_b32_e64 v11, v16, v11, s0
	v_cmp_lt_i32_e64 s0, 5, v23
	v_or_b32_e32 v16, 0x1000, v20
	v_med3_i32 v1, v1, 0, 13
	v_cvt_f32_f16_e32 v3, v3
	v_and_or_b32 v17, 0x8000, v12, v11
	s_or_b32 s0, s1, s0
	s_wait_alu 0xfffe
	v_add_co_ci_u32_e64 v12, s0, 0, v13, s0
	v_lshrrev_b32_e32 v11, v1, v16
	v_cmp_ne_u32_e64 s0, 0, v19
	v_add_nc_u32_e32 v19, 0xfffffc10, v22
	v_and_b32_e32 v17, 0xffff, v17
	s_delay_alu instid0(VALU_DEP_4)
	v_lshlrev_b32_e32 v1, v1, v11
	s_wait_alu 0xf1ff
	v_cndmask_b32_e64 v13, 0, 1, s0
	v_cmp_gt_i32_e64 s0, 31, v15
	v_and_or_b32 v5, 0x1ff, v6, v5
	v_lshl_or_b32 v14, v19, 12, v20
	s_delay_alu instid0(VALU_DEP_4)
	v_lshl_or_b32 v13, v13, 9, 0x7c00
	s_wait_alu 0xf1ff
	v_cndmask_b32_e64 v12, 0x7c00, v12, s0
	v_cmp_ne_u32_e64 s0, v1, v16
	v_lshrrev_b32_e32 v16, 16, v18
	s_wait_alu 0xf1ff
	s_delay_alu instid0(VALU_DEP_2) | instskip(SKIP_3) | instid1(VALU_DEP_4)
	v_cndmask_b32_e64 v1, 0, 1, s0
	v_cmp_eq_u32_e64 s0, 0x40f, v15
	v_bfe_u32 v15, v6, 20, 11
	v_mul_f64_e32 v[9:10], s[6:7], v[9:10]
	v_or_b32_e32 v1, v11, v1
	s_wait_alu 0xf1ff
	v_cndmask_b32_e64 v13, v12, v13, s0
	v_cmp_ne_u32_e64 s0, 0, v5
	v_cvt_f64_f32_e32 v[11:12], v3
	v_lshrrev_b32_e32 v5, 8, v6
	s_delay_alu instid0(VALU_DEP_4) | instskip(SKIP_3) | instid1(VALU_DEP_2)
	v_and_or_b32 v16, 0x8000, v16, v13
	s_wait_alu 0xf1ff
	v_cndmask_b32_e64 v3, 0, 1, s0
	v_cmp_gt_i32_e64 s0, 1, v19
	v_and_or_b32 v3, 0xffe, v5, v3
	v_sub_nc_u32_e32 v5, 0x3f1, v15
	s_wait_alu 0xf1ff
	s_delay_alu instid0(VALU_DEP_3)
	v_cndmask_b32_e64 v18, v14, v1, s0
	v_add_nc_u32_e32 v1, 0x800, v63
	s_movk_i32 s0, 0xfe5e
	v_or_b32_e32 v22, 0x1000, v3
	v_med3_i32 v5, v5, 0, 13
	v_and_b32_e32 v21, 7, v18
	s_mov_b32 s1, -1
	ds_load_2addr_b32 v[13:14], v1 offset0:38 offset1:82
	s_wait_alu 0xfffe
	s_mul_u64 s[2:3], s[8:9], s[0:1]
	v_lshrrev_b32_e32 v23, v5, v22
	v_cmp_lt_i32_e64 s0, 5, v21
	v_cmp_eq_u32_e64 s1, 3, v21
	v_lshl_or_b32 v21, v16, 16, v17
	v_lshrrev_b32_e32 v16, 2, v18
	v_lshlrev_b32_e32 v5, v5, v23
	v_add_nc_u32_e32 v17, 0xfffffc10, v15
	s_or_b32 s0, s1, s0
	s_wait_alu 0xfffe
	s_lshl_b64 s[8:9], s[2:3], 2
	v_add_co_ci_u32_e64 v16, s0, 0, v16, s0
	v_cmp_ne_u32_e64 s0, v5, v22
	v_lshl_or_b32 v15, v17, 12, v3
	v_and_or_b32 v9, 0x1ff, v10, v9
	v_cmp_eq_u32_e64 s2, 0x40f, v19
	s_wait_alu 0xf1ff
	v_cndmask_b32_e64 v5, 0, 1, s0
	v_cmp_gt_i32_e64 s0, 31, v19
	v_mul_f64_e32 v[11:12], s[6:7], v[11:12]
	s_wait_dscnt 0x0
	v_lshrrev_b32_e32 v22, 16, v13
	v_or_b32_e32 v5, v23, v5
	s_wait_alu 0xf1ff
	v_cndmask_b32_e64 v18, 0x7c00, v16, s0
	v_cmp_ne_u32_e64 s0, 0, v20
	v_mul_f16_e32 v16, v95, v22
	v_bfe_u32 v23, v10, 20, 11
	s_wait_alu 0xf1ff
	s_delay_alu instid0(VALU_DEP_3)
	v_cndmask_b32_e64 v20, 0, 1, s0
	v_cmp_gt_i32_e64 s0, 1, v17
	v_fmac_f16_e32 v16, v90, v13
	v_sub_nc_u32_e32 v25, 0x3f1, v23
	v_mul_f16_e32 v13, v95, v13
	v_lshl_or_b32 v20, v20, 9, 0x7c00
	s_wait_alu 0xf1ff
	v_cndmask_b32_e64 v5, v15, v5, s0
	v_cmp_ne_u32_e64 s0, 0, v9
	v_lshrrev_b32_e32 v15, 8, v10
	v_cvt_f32_f16_e32 v16, v16
	v_med3_i32 v25, v25, 0, 13
	v_and_b32_e32 v24, 7, v5
	s_wait_alu 0xf1ff
	v_cndmask_b32_e64 v9, 0, 1, s0
	v_lshrrev_b32_e32 v5, 2, v5
	v_cndmask_b32_e64 v18, v18, v20, s2
	v_fma_f16 v13, v90, v22, -v13
	v_cmp_lt_i32_e64 s0, 5, v24
	v_and_or_b32 v9, 0xffe, v15, v9
	v_cmp_eq_u32_e64 s1, 3, v24
	v_cvt_f64_f32_e32 v[15:16], v16
	v_and_or_b32 v18, 0x8000, v2, v18
	v_cvt_f32_f16_e32 v13, v13
	v_or_b32_e32 v24, 0x1000, v9
	s_or_b32 s0, s1, s0
	s_wait_alu 0xfffe
	v_add_co_ci_u32_e64 v5, s0, 0, v5, s0
	s_delay_alu instid0(VALU_DEP_2) | instskip(SKIP_1) | instid1(VALU_DEP_2)
	v_lshrrev_b32_e32 v19, v25, v24
	v_cmp_ne_u32_e64 s0, 0, v3
	v_lshlrev_b32_e32 v2, v25, v19
	s_wait_alu 0xf1ff
	s_delay_alu instid0(VALU_DEP_2) | instskip(SKIP_1) | instid1(VALU_DEP_2)
	v_cndmask_b32_e64 v3, 0, 1, s0
	v_cmp_gt_i32_e64 s0, 31, v17
	v_lshl_or_b32 v20, v3, 9, 0x7c00
	s_wait_alu 0xf1ff
	s_delay_alu instid0(VALU_DEP_2)
	v_cndmask_b32_e64 v5, 0x7c00, v5, s0
	v_and_or_b32 v3, 0x1ff, v12, v11
	v_cmp_ne_u32_e64 s0, v2, v24
	v_add_nc_u32_e32 v11, 0xfffffc10, v23
	v_lshrrev_b32_e32 v23, 8, v12
	v_bfe_u32 v24, v12, 20, 11
	s_wait_alu 0xf1ff
	v_cndmask_b32_e64 v2, 0, 1, s0
	v_cmp_ne_u32_e64 s0, 0, v3
	s_delay_alu instid0(VALU_DEP_2) | instskip(SKIP_1) | instid1(VALU_DEP_2)
	v_or_b32_e32 v2, v19, v2
	s_wait_alu 0xf1ff
	v_cndmask_b32_e64 v3, 0, 1, s0
	v_lshl_or_b32 v19, v11, 12, v9
	v_cmp_gt_i32_e64 s0, 1, v11
	s_delay_alu instid0(VALU_DEP_3) | instskip(SKIP_2) | instid1(VALU_DEP_3)
	v_and_or_b32 v22, 0xffe, v23, v3
	v_sub_nc_u32_e32 v3, 0x3f1, v24
	s_wait_alu 0xf1ff
	v_cndmask_b32_e64 v19, v19, v2, s0
	v_cmp_eq_u32_e64 s0, 0x40f, v17
	v_lshrrev_b32_e32 v17, 16, v6
	v_or_b32_e32 v23, 0x1000, v22
	v_med3_i32 v25, v3, 0, 13
	v_mul_f64_e32 v[2:3], s[6:7], v[15:16]
	v_cvt_f64_f32_e32 v[15:16], v13
	s_wait_alu 0xf1ff
	v_cndmask_b32_e64 v13, v5, v20, s0
	v_and_b32_e32 v20, 7, v19
	v_lshrrev_b32_e32 v26, v25, v23
	v_add_co_u32 v5, s0, v7, s8
	s_wait_alu 0xf1ff
	v_add_co_ci_u32_e64 v6, s0, s9, v8, s0
	s_delay_alu instid0(VALU_DEP_3)
	v_lshlrev_b32_e32 v8, v25, v26
	v_cmp_lt_i32_e64 s0, 5, v20
	v_cmp_eq_u32_e64 s1, 3, v20
	v_and_or_b32 v7, 0x8000, v17, v13
	v_lshrrev_b32_e32 v17, 2, v19
	v_cmp_ne_u32_e64 s2, v8, v23
	v_and_b32_e32 v13, 0xffff, v18
	s_or_b32 s0, s1, s0
	v_add_nc_u32_e32 v18, 0xfffffc10, v24
	s_wait_alu 0xfffe
	v_add_co_ci_u32_e64 v17, s0, 0, v17, s0
	v_cndmask_b32_e64 v8, 0, 1, s2
	v_cmp_ne_u32_e64 s0, 0, v9
	v_lshl_or_b32 v19, v18, 12, v22
	v_lshrrev_b32_e32 v20, 16, v4
	v_lshl_or_b32 v13, v7, 16, v13
	v_or_b32_e32 v8, v26, v8
	s_wait_alu 0xf1ff
	v_cndmask_b32_e64 v9, 0, 1, s0
	v_cmp_gt_i32_e64 s0, 1, v18
	v_mul_f16_e32 v23, v92, v20
	global_store_b32 v[5:6], v21, off
	v_lshl_or_b32 v9, v9, 9, 0x7c00
	s_wait_alu 0xf1ff
	v_cndmask_b32_e64 v19, v19, v8, s0
	v_cmp_gt_i32_e64 s0, 31, v11
	v_fmac_f16_e32 v23, v89, v4
	v_mul_f16_e32 v4, v92, v4
	s_wait_alu 0xf1ff
	s_delay_alu instid0(VALU_DEP_3)
	v_cndmask_b32_e64 v8, 0x7c00, v17, s0
	v_cmp_eq_u32_e64 s0, 0x40f, v11
	v_and_or_b32 v2, 0x1ff, v3, v2
	v_and_b32_e32 v17, 7, v19
	v_lshrrev_b32_e32 v11, 2, v19
	v_fma_f16 v4, v89, v20, -v4
	s_wait_alu 0xf1ff
	v_cndmask_b32_e64 v24, v8, v9, s0
	v_mul_f64_e32 v[7:8], s[6:7], v[15:16]
	v_cvt_f32_f16_e32 v9, v23
	v_cmp_ne_u32_e64 s2, 0, v2
	v_cmp_lt_i32_e64 s0, 5, v17
	v_cmp_eq_u32_e64 s1, 3, v17
	v_bfe_u32 v17, v3, 20, 11
	v_cvt_f64_f32_e32 v[15:16], v9
	s_wait_alu 0xf1ff
	v_cndmask_b32_e64 v2, 0, 1, s2
	v_lshrrev_b32_e32 v9, 8, v3
	s_or_b32 s0, s1, s0
	v_cvt_f32_f16_e32 v4, v4
	s_wait_alu 0xfffe
	v_add_co_ci_u32_e64 v11, s0, 0, v11, s0
	v_and_or_b32 v2, 0xffe, v9, v2
	v_sub_nc_u32_e32 v9, 0x3f1, v17
	v_cmp_ne_u32_e64 s0, 0, v22
	v_lshrrev_b32_e32 v20, 16, v10
	s_delay_alu instid0(VALU_DEP_4) | instskip(NEXT) | instid1(VALU_DEP_4)
	v_or_b32_e32 v22, 0x1000, v2
	v_med3_i32 v9, v9, 0, 13
	s_wait_alu 0xf1ff
	v_cndmask_b32_e64 v19, 0, 1, s0
	v_cmp_gt_i32_e64 s0, 31, v18
	s_delay_alu instid0(VALU_DEP_3) | instskip(NEXT) | instid1(VALU_DEP_3)
	v_lshrrev_b32_e32 v23, v9, v22
	v_lshl_or_b32 v19, v19, 9, 0x7c00
	s_wait_alu 0xf1ff
	s_delay_alu instid0(VALU_DEP_3)
	v_cndmask_b32_e64 v11, 0x7c00, v11, s0
	v_cmp_eq_u32_e64 s0, 0x40f, v18
	v_lshlrev_b32_e32 v25, v9, v23
	v_cvt_f64_f32_e32 v[9:10], v4
	v_and_or_b32 v4, 0x8000, v20, v24
	s_wait_alu 0xf1ff
	v_cndmask_b32_e64 v18, v11, v19, s0
	v_add_co_u32 v11, s0, v5, s4
	v_lshrrev_b32_e32 v19, 16, v12
	s_wait_alu 0xf1ff
	v_add_co_ci_u32_e64 v12, s0, s5, v6, s0
	v_and_or_b32 v7, 0x1ff, v8, v7
	v_cmp_ne_u32_e64 s0, v25, v22
	v_and_or_b32 v18, 0x8000, v19, v18
	v_add_nc_u32_e32 v20, 0xfffffc10, v17
	v_lshrrev_b32_e32 v17, 8, v8
	v_bfe_u32 v22, v8, 20, 11
	s_wait_alu 0xf1ff
	v_cndmask_b32_e64 v19, 0, 1, s0
	v_cmp_ne_u32_e64 s0, 0, v7
	v_mul_f64_e32 v[15:16], s[6:7], v[15:16]
	v_and_b32_e32 v4, 0xffff, v4
	s_delay_alu instid0(VALU_DEP_4)
	v_or_b32_e32 v19, v23, v19
	s_wait_alu 0xf1ff
	v_cndmask_b32_e64 v7, 0, 1, s0
	v_lshl_or_b32 v23, v20, 12, v2
	v_cmp_gt_i32_e64 s0, 1, v20
	v_lshl_or_b32 v4, v18, 16, v4
	s_delay_alu instid0(VALU_DEP_4)
	v_and_or_b32 v24, 0xffe, v17, v7
	v_sub_nc_u32_e32 v7, 0x3f1, v22
	s_wait_alu 0xf1ff
	v_cndmask_b32_e64 v19, v23, v19, s0
	v_add_co_u32 v17, s0, v11, s8
	v_or_b32_e32 v23, 0x1000, v24
	v_med3_i32 v7, v7, 0, 13
	s_wait_alu 0xf1ff
	v_add_co_ci_u32_e64 v18, s0, s9, v12, s0
	v_and_b32_e32 v5, 7, v19
	s_clause 0x1
	global_store_b32 v[11:12], v13, off
	global_store_b32 v[17:18], v4, off
	v_lshrrev_b32_e32 v6, v7, v23
	v_lshrrev_b32_e32 v11, 16, v14
	v_cmp_lt_i32_e64 s0, 5, v5
	v_cmp_eq_u32_e64 s1, 3, v5
	v_mul_f64_e32 v[4:5], s[6:7], v[9:10]
	v_lshlrev_b32_e32 v7, v7, v6
	v_lshrrev_b32_e32 v10, 2, v19
	v_mul_f16_e32 v9, v91, v11
	s_or_b32 s0, s1, s0
	v_add_nc_u32_e32 v12, 0xfffffc10, v22
	v_cmp_ne_u32_e64 s2, v7, v23
	s_wait_alu 0xfffe
	v_add_co_ci_u32_e64 v10, s0, 0, v10, s0
	v_fmac_f16_e32 v9, v87, v14
	v_cmp_ne_u32_e64 s0, 0, v2
	s_wait_alu 0xf1ff
	v_cndmask_b32_e64 v7, 0, 1, s2
	v_mul_f16_e32 v14, v91, v14
	v_and_or_b32 v15, 0x1ff, v16, v15
	v_bfe_u32 v19, v16, 20, 11
	v_cndmask_b32_e64 v2, 0, 1, s0
	v_or_b32_e32 v13, v6, v7
	v_cvt_f32_f16_e32 v6, v9
	v_lshl_or_b32 v9, v12, 12, v24
	v_cmp_gt_i32_e64 s0, 1, v12
	v_lshl_or_b32 v2, v2, 9, 0x7c00
	v_fma_f16 v11, v87, v11, -v14
	v_cvt_f64_f32_e32 v[6:7], v6
	s_wait_alu 0xf1ff
	v_cndmask_b32_e64 v9, v9, v13, s0
	v_cmp_ne_u32_e64 s0, 0, v15
	v_lshrrev_b32_e32 v15, 8, v16
	v_cvt_f32_f16_e32 v11, v11
	v_lshrrev_b32_e32 v16, 16, v16
	v_and_b32_e32 v21, 7, v9
	s_wait_alu 0xf1ff
	v_cndmask_b32_e64 v13, 0, 1, s0
	v_cmp_gt_i32_e64 s0, 31, v20
	s_delay_alu instid0(VALU_DEP_3) | instskip(NEXT) | instid1(VALU_DEP_3)
	v_cmp_eq_u32_e64 s1, 3, v21
	v_and_or_b32 v13, 0xffe, v15, v13
	s_wait_alu 0xf1ff
	s_delay_alu instid0(VALU_DEP_3)
	v_cndmask_b32_e64 v10, 0x7c00, v10, s0
	v_sub_nc_u32_e32 v15, 0x3f1, v19
	v_cmp_eq_u32_e64 s0, 0x40f, v20
	v_lshrrev_b32_e32 v20, 16, v3
	v_lshrrev_b32_e32 v3, 2, v9
	v_and_or_b32 v4, 0x1ff, v5, v4
	v_med3_i32 v15, v15, 0, 13
	s_wait_alu 0xf1ff
	v_cndmask_b32_e64 v10, v10, v2, s0
	v_or_b32_e32 v2, 0x1000, v13
	v_cmp_lt_i32_e64 s0, 5, v21
	v_lshrrev_b32_e32 v14, 8, v5
	v_add_nc_u32_e32 v19, 0xfffffc10, v19
	v_and_or_b32 v10, 0x8000, v20, v10
	v_lshrrev_b32_e32 v9, v15, v2
	s_or_b32 s0, s1, s0
	s_wait_alu 0xfffe
	v_add_co_ci_u32_e64 v21, s0, 0, v3, s0
	s_delay_alu instid0(VALU_DEP_2) | instskip(SKIP_3) | instid1(VALU_DEP_2)
	v_lshlrev_b32_e32 v3, v15, v9
	v_cmp_ne_u32_e64 s0, 0, v4
	v_bfe_u32 v15, v5, 20, 11
	s_wait_alu 0xf1ff
	v_cndmask_b32_e64 v4, 0, 1, s0
	v_cmp_ne_u32_e64 s0, v3, v2
	v_mul_f64_e32 v[2:3], s[6:7], v[6:7]
	v_cvt_f64_f32_e32 v[6:7], v11
	s_delay_alu instid0(VALU_DEP_4)
	v_and_or_b32 v4, 0xffe, v14, v4
	s_wait_alu 0xf1ff
	v_cndmask_b32_e64 v22, 0, 1, s0
	v_sub_nc_u32_e32 v14, 0x3f1, v15
	v_cmp_ne_u32_e64 s0, 0, v24
	v_or_b32_e32 v23, 0x1000, v4
	s_delay_alu instid0(VALU_DEP_4) | instskip(NEXT) | instid1(VALU_DEP_4)
	v_or_b32_e32 v9, v9, v22
	v_med3_i32 v14, v14, 0, 13
	s_wait_alu 0xf1ff
	v_cndmask_b32_e64 v11, 0, 1, s0
	v_cmp_gt_i32_e64 s0, 31, v12
	v_lshl_or_b32 v22, v19, 12, v13
	v_lshrrev_b32_e32 v24, v14, v23
	s_delay_alu instid0(VALU_DEP_4)
	v_lshl_or_b32 v11, v11, 9, 0x7c00
	s_wait_alu 0xf1ff
	v_cndmask_b32_e64 v21, 0x7c00, v21, s0
	v_cmp_gt_i32_e64 s0, 1, v19
	v_lshlrev_b32_e32 v14, v14, v24
	s_wait_alu 0xf1ff
	s_delay_alu instid0(VALU_DEP_2)
	v_cndmask_b32_e64 v22, v22, v9, s0
	v_cmp_eq_u32_e64 s0, 0x40f, v12
	v_lshrrev_b32_e32 v12, 16, v8
	v_cmp_ne_u32_e64 s1, v14, v23
	ds_load_2addr_b32 v[8:9], v63 offset0:176 offset1:220
	v_add_nc_u32_e32 v14, 0xfffffc10, v15
	s_wait_alu 0xf1ff
	v_cndmask_b32_e64 v11, v21, v11, s0
	v_and_b32_e32 v21, 7, v22
	v_and_b32_e32 v15, 0xffff, v10
	v_lshrrev_b32_e32 v10, 2, v22
	v_lshl_or_b32 v20, v14, 12, v4
	v_and_or_b32 v12, 0x8000, v12, v11
	v_cmp_lt_i32_e64 s0, 5, v21
	v_cndmask_b32_e64 v11, 0, 1, s1
	v_cmp_eq_u32_e64 s1, 3, v21
	v_and_or_b32 v2, 0x1ff, v3, v2
	v_mul_f64_e32 v[6:7], s[6:7], v[6:7]
	v_lshrrev_b32_e32 v23, 8, v3
	v_or_b32_e32 v11, v24, v11
	s_or_b32 s0, s1, s0
	v_bfe_u32 v24, v3, 20, 11
	s_wait_alu 0xfffe
	v_add_co_ci_u32_e64 v10, s0, 0, v10, s0
	v_cmp_ne_u32_e64 s0, 0, v13
	v_lshl_or_b32 v25, v12, 16, v15
	v_lshrrev_b32_e32 v3, 16, v3
	s_wait_alu 0xf1ff
	s_delay_alu instid0(VALU_DEP_3) | instskip(SKIP_1) | instid1(VALU_DEP_2)
	v_cndmask_b32_e64 v13, 0, 1, s0
	v_cmp_gt_i32_e64 s0, 1, v14
	v_lshl_or_b32 v13, v13, 9, 0x7c00
	s_wait_alu 0xf1ff
	s_delay_alu instid0(VALU_DEP_2) | instskip(SKIP_3) | instid1(VALU_DEP_3)
	v_cndmask_b32_e64 v11, v20, v11, s0
	v_cmp_gt_i32_e64 s0, 31, v19
	s_wait_dscnt 0x0
	v_lshrrev_b32_e32 v20, 16, v8
	v_and_b32_e32 v22, 7, v11
	s_wait_alu 0xf1ff
	v_cndmask_b32_e64 v10, 0x7c00, v10, s0
	v_cmp_ne_u32_e64 s0, 0, v2
	v_mul_f16_e32 v21, v88, v20
	v_cmp_eq_u32_e64 s1, 3, v22
	s_wait_alu 0xf1ff
	s_delay_alu instid0(VALU_DEP_3) | instskip(SKIP_2) | instid1(VALU_DEP_3)
	v_cndmask_b32_e64 v2, 0, 1, s0
	v_cmp_eq_u32_e64 s0, 0x40f, v19
	v_fmac_f16_e32 v21, v85, v8
	v_and_or_b32 v19, 0xffe, v23, v2
	s_wait_alu 0xf1ff
	s_delay_alu instid0(VALU_DEP_3)
	v_cndmask_b32_e64 v13, v10, v13, s0
	v_cmp_lt_i32_e64 s0, 5, v22
	v_cvt_f32_f16_e32 v10, v21
	v_lshrrev_b32_e32 v21, 2, v11
	v_sub_nc_u32_e32 v2, 0x3f1, v24
	v_or_b32_e32 v22, 0x1000, v19
	s_or_b32 s0, s1, s0
	v_cvt_f64_f32_e32 v[10:11], v10
	s_wait_alu 0xfffe
	v_add_co_ci_u32_e64 v21, s0, 0, v21, s0
	v_med3_i32 v2, v2, 0, 13
	v_cmp_ne_u32_e64 s0, 0, v4
	v_and_or_b32 v12, 0x8000, v16, v13
	v_bfe_u32 v15, v7, 20, 11
	s_delay_alu instid0(VALU_DEP_4) | instskip(SKIP_3) | instid1(VALU_DEP_3)
	v_lshrrev_b32_e32 v23, v2, v22
	s_wait_alu 0xf1ff
	v_cndmask_b32_e64 v4, 0, 1, s0
	v_cmp_gt_i32_e64 s0, 31, v14
	v_lshlrev_b32_e32 v2, v2, v23
	s_delay_alu instid0(VALU_DEP_3) | instskip(SKIP_1) | instid1(VALU_DEP_3)
	v_lshl_or_b32 v4, v4, 9, 0x7c00
	s_wait_alu 0xf1ff
	v_cndmask_b32_e64 v21, 0x7c00, v21, s0
	v_cmp_eq_u32_e64 s0, 0x40f, v14
	v_lshrrev_b32_e32 v14, 16, v5
	v_and_or_b32 v5, 0x1ff, v7, v6
	v_add_nc_u32_e32 v6, 0xfffffc10, v24
	s_wait_alu 0xf1ff
	v_cndmask_b32_e64 v13, v21, v4, s0
	v_cmp_ne_u32_e64 s0, v2, v22
	v_mul_f16_e32 v4, v88, v8
	v_lshrrev_b32_e32 v8, 8, v7
	v_lshl_or_b32 v16, v6, 12, v19
	v_and_or_b32 v14, 0x8000, v14, v13
	s_wait_alu 0xf1ff
	v_cndmask_b32_e64 v2, 0, 1, s0
	v_cmp_ne_u32_e64 s0, 0, v5
	v_fma_f16 v4, v85, v20, -v4
	v_sub_nc_u32_e32 v20, 0x3f1, v15
	v_and_b32_e32 v22, 0xffff, v12
	v_or_b32_e32 v2, v23, v2
	s_wait_alu 0xf1ff
	v_cndmask_b32_e64 v5, 0, 1, s0
	v_cvt_f32_f16_e32 v4, v4
	v_cmp_gt_i32_e64 s0, 1, v6
	v_med3_i32 v20, v20, 0, 13
	s_delay_alu instid0(VALU_DEP_4) | instskip(NEXT) | instid1(VALU_DEP_4)
	v_and_or_b32 v8, 0xffe, v8, v5
	v_cvt_f64_f32_e32 v[4:5], v4
	s_wait_alu 0xf1ff
	v_cndmask_b32_e64 v16, v16, v2, s0
	v_mul_f64_e32 v[10:11], s[6:7], v[10:11]
	ds_load_2addr_b32 v[1:2], v1 offset0:126 offset1:170
	v_or_b32_e32 v21, 0x1000, v8
	v_add_co_u32 v12, s0, v17, s4
	v_and_b32_e32 v23, 7, v16
	s_wait_alu 0xf1ff
	v_add_co_ci_u32_e64 v13, s0, s5, v18, s0
	v_lshrrev_b32_e32 v24, v20, v21
	v_lshl_or_b32 v18, v14, 16, v22
	v_cmp_lt_i32_e64 s0, 5, v23
	v_cmp_eq_u32_e64 s1, 3, v23
	v_lshrrev_b32_e32 v14, 2, v16
	v_lshlrev_b32_e32 v17, v20, v24
	s_delay_alu instid0(VALU_DEP_3) | instskip(NEXT) | instid1(VALU_DEP_1)
	s_or_b32 s0, s1, s0
	v_cmp_ne_u32_e64 s2, v17, v21
	s_wait_alu 0xfffe
	v_add_co_ci_u32_e64 v14, s0, 0, v14, s0
	v_add_nc_u32_e32 v17, 0xfffffc10, v15
	v_cmp_ne_u32_e64 s0, 0, v19
	s_wait_alu 0xf1ff
	v_cndmask_b32_e64 v16, 0, 1, s2
	s_wait_dscnt 0x0
	v_lshrrev_b32_e32 v20, 16, v1
	v_cndmask_b32_e64 v19, 0, 1, s0
	s_delay_alu instid0(VALU_DEP_3) | instskip(SKIP_2) | instid1(VALU_DEP_4)
	v_or_b32_e32 v15, v24, v16
	v_lshl_or_b32 v16, v17, 12, v8
	v_cmp_gt_i32_e64 s0, 1, v17
	v_lshl_or_b32 v19, v19, 9, 0x7c00
	s_wait_alu 0xf1ff
	s_delay_alu instid0(VALU_DEP_2) | instskip(SKIP_3) | instid1(VALU_DEP_4)
	v_cndmask_b32_e64 v15, v16, v15, s0
	v_mul_f16_e32 v16, v86, v20
	v_cmp_gt_i32_e64 s0, 31, v6
	v_mul_f64_e32 v[4:5], s[6:7], v[4:5]
	v_and_b32_e32 v21, 7, v15
	s_delay_alu instid0(VALU_DEP_4)
	v_fmac_f16_e32 v16, v83, v1
	s_wait_alu 0xf1ff
	v_cndmask_b32_e64 v14, 0x7c00, v14, s0
	v_cmp_eq_u32_e64 s0, 0x40f, v6
	v_and_or_b32 v6, 0x1ff, v11, v10
	v_cmp_eq_u32_e64 s1, 3, v21
	v_cvt_f32_f16_e32 v10, v16
	v_lshrrev_b32_e32 v16, 2, v15
	s_wait_alu 0xf1ff
	v_cndmask_b32_e64 v19, v14, v19, s0
	v_cmp_ne_u32_e64 s2, 0, v6
	v_cmp_lt_i32_e64 s0, 5, v21
	v_cvt_f64_f32_e32 v[14:15], v10
	v_lshrrev_b32_e32 v10, 8, v11
	v_bfe_u32 v21, v11, 20, 11
	s_wait_alu 0xf1ff
	v_cndmask_b32_e64 v6, 0, 1, s2
	s_or_b32 s0, s1, s0
	v_mul_f16_e32 v1, v86, v1
	s_wait_alu 0xfffe
	v_add_co_ci_u32_e64 v16, s0, 0, v16, s0
	v_cmp_ne_u32_e64 s0, 0, v8
	v_and_or_b32 v10, 0xffe, v10, v6
	v_sub_nc_u32_e32 v6, 0x3f1, v21
	v_and_or_b32 v19, 0x8000, v3, v19
	v_fma_f16 v1, v83, v20, -v1
	s_wait_alu 0xf1ff
	v_cndmask_b32_e64 v8, 0, 1, s0
	v_cmp_gt_i32_e64 s0, 31, v17
	v_or_b32_e32 v22, 0x1000, v10
	v_med3_i32 v23, v6, 0, 13
	v_cvt_f32_f16_e32 v1, v1
	v_lshl_or_b32 v8, v8, 9, 0x7c00
	s_wait_alu 0xf1ff
	v_cndmask_b32_e64 v16, 0x7c00, v16, s0
	v_cmp_eq_u32_e64 s0, 0x40f, v17
	v_lshrrev_b32_e32 v17, v23, v22
	v_add_nc_u32_e32 v21, 0xfffffc10, v21
	v_and_b32_e32 v19, 0xffff, v19
	v_lshrrev_b32_e32 v11, 16, v11
	s_wait_alu 0xf1ff
	v_cndmask_b32_e64 v8, v16, v8, s0
	v_lshlrev_b32_e32 v23, v23, v17
	v_add_co_u32 v6, s0, v12, s8
	v_lshrrev_b32_e32 v16, 16, v7
	s_wait_alu 0xf1ff
	v_add_co_ci_u32_e64 v7, s0, s9, v13, s0
	v_and_or_b32 v3, 0x1ff, v5, v4
	v_cmp_ne_u32_e64 s0, v23, v22
	v_and_or_b32 v8, 0x8000, v16, v8
	v_lshrrev_b32_e32 v22, 8, v5
	v_bfe_u32 v23, v5, 20, 11
	global_store_b32 v[12:13], v25, off
	global_store_b32 v[6:7], v18, off
	s_wait_alu 0xf1ff
	v_cndmask_b32_e64 v16, 0, 1, s0
	v_cmp_ne_u32_e64 s0, 0, v3
	v_mul_f64_e32 v[3:4], s[6:7], v[14:15]
	v_cvt_f64_f32_e32 v[14:15], v1
	v_sub_nc_u32_e32 v1, 0x3f1, v23
	v_or_b32_e32 v16, v17, v16
	s_wait_alu 0xf1ff
	v_cndmask_b32_e64 v20, 0, 1, s0
	v_lshl_or_b32 v17, v21, 12, v10
	v_cmp_gt_i32_e64 s0, 1, v21
	v_med3_i32 v1, v1, 0, 13
	v_lshl_or_b32 v18, v8, 16, v19
	v_and_or_b32 v20, 0xffe, v22, v20
	v_lshrrev_b32_e32 v19, 16, v9
	s_wait_alu 0xf1ff
	v_cndmask_b32_e64 v16, v17, v16, s0
	v_add_co_u32 v6, s0, v6, s4
	v_or_b32_e32 v17, 0x1000, v20
	s_wait_alu 0xf1ff
	v_add_co_ci_u32_e64 v7, s0, s5, v7, s0
	v_and_b32_e32 v8, 7, v16
	v_lshrrev_b32_e32 v13, 2, v16
	v_lshrrev_b32_e32 v12, v1, v17
	v_add_nc_u32_e32 v16, 0xfffffc10, v23
	v_lshrrev_b32_e32 v5, 16, v5
	v_cmp_lt_i32_e64 s0, 5, v8
	v_cmp_eq_u32_e64 s1, 3, v8
	v_lshlrev_b32_e32 v1, v1, v12
	v_mul_f16_e32 v8, v84, v19
	v_lshl_or_b32 v22, v16, 12, v20
	global_store_b32 v[6:7], v18, off
	s_or_b32 s0, s1, s0
	v_cmp_ne_u32_e64 s2, v1, v17
	v_fmac_f16_e32 v8, v81, v9
	s_wait_alu 0xfffe
	v_add_co_ci_u32_e64 v17, s0, 0, v13, s0
	v_cmp_ne_u32_e64 s0, 0, v10
	s_wait_alu 0xf1ff
	v_cndmask_b32_e64 v1, 0, 1, s2
	v_cvt_f32_f16_e32 v8, v8
	v_mul_f16_e32 v9, v84, v9
	v_lshrrev_b32_e32 v18, 16, v2
	v_cndmask_b32_e64 v10, 0, 1, s0
	v_or_b32_e32 v1, v12, v1
	v_and_or_b32 v3, 0x1ff, v4, v3
	v_cmp_gt_i32_e64 s0, 1, v16
	v_cvt_f64_f32_e32 v[12:13], v8
	v_mul_f64_e32 v[14:15], s[6:7], v[14:15]
	v_lshrrev_b32_e32 v8, 8, v4
	v_lshl_or_b32 v10, v10, 9, 0x7c00
	s_wait_alu 0xf1ff
	v_cndmask_b32_e64 v1, v22, v1, s0
	v_cmp_ne_u32_e64 s0, 0, v3
	v_bfe_u32 v22, v4, 20, 11
	v_fma_f16 v9, v81, v19, -v9
	s_delay_alu instid0(VALU_DEP_4)
	v_and_b32_e32 v23, 7, v1
	s_wait_alu 0xf1ff
	v_cndmask_b32_e64 v3, 0, 1, s0
	v_cmp_gt_i32_e64 s0, 31, v21
	v_lshrrev_b32_e32 v1, 2, v1
	v_cmp_eq_u32_e64 s1, 3, v23
	s_delay_alu instid0(VALU_DEP_4)
	v_and_or_b32 v3, 0xffe, v8, v3
	s_wait_alu 0xf1ff
	v_cndmask_b32_e64 v17, 0x7c00, v17, s0
	v_cmp_eq_u32_e64 s0, 0x40f, v21
	v_sub_nc_u32_e32 v8, 0x3f1, v22
	s_wait_alu 0xf1ff
	s_delay_alu instid0(VALU_DEP_2) | instskip(SKIP_3) | instid1(VALU_DEP_4)
	v_cndmask_b32_e64 v10, v17, v10, s0
	v_cmp_lt_i32_e64 s0, 5, v23
	v_or_b32_e32 v17, 0x1000, v3
	v_med3_i32 v8, v8, 0, 13
	v_and_or_b32 v21, 0x8000, v11, v10
	s_delay_alu instid0(VALU_DEP_4)
	s_or_b32 s0, s1, s0
	v_cvt_f32_f16_e32 v11, v9
	s_wait_alu 0xfffe
	v_add_co_ci_u32_e64 v1, s0, 0, v1, s0
	v_lshrrev_b32_e32 v23, v8, v17
	v_cmp_ne_u32_e64 s0, 0, v20
	s_delay_alu instid0(VALU_DEP_2) | instskip(SKIP_1) | instid1(VALU_DEP_2)
	v_lshlrev_b32_e32 v8, v8, v23
	s_wait_alu 0xf1ff
	v_cndmask_b32_e64 v10, 0, 1, s0
	v_cmp_gt_i32_e64 s0, 31, v16
	s_delay_alu instid0(VALU_DEP_2) | instskip(SKIP_1) | instid1(VALU_DEP_2)
	v_lshl_or_b32 v19, v10, 9, 0x7c00
	s_wait_alu 0xf1ff
	v_cndmask_b32_e64 v1, 0x7c00, v1, s0
	v_cmp_ne_u32_e64 s0, v8, v17
	v_mul_f64_e32 v[8:9], s[6:7], v[12:13]
	v_cvt_f64_f32_e32 v[10:11], v11
	v_and_or_b32 v13, 0x1ff, v15, v14
	v_add_nc_u32_e32 v12, 0xfffffc10, v22
	s_wait_alu 0xf1ff
	v_cndmask_b32_e64 v17, 0, 1, s0
	v_cmp_eq_u32_e64 s0, 0x40f, v16
	s_delay_alu instid0(VALU_DEP_3) | instskip(NEXT) | instid1(VALU_DEP_3)
	v_lshl_or_b32 v16, v12, 12, v3
	v_or_b32_e32 v14, v23, v17
	s_wait_alu 0xf1ff
	s_delay_alu instid0(VALU_DEP_3) | instskip(SKIP_3) | instid1(VALU_DEP_4)
	v_cndmask_b32_e64 v1, v1, v19, s0
	v_cmp_ne_u32_e64 s0, 0, v13
	v_lshrrev_b32_e32 v17, 8, v15
	v_bfe_u32 v19, v15, 20, 11
	v_and_or_b32 v1, 0x8000, v5, v1
	s_wait_alu 0xf1ff
	v_cndmask_b32_e64 v13, 0, 1, s0
	v_cmp_gt_i32_e64 s0, 1, v12
	v_and_b32_e32 v5, 0xffff, v21
	s_delay_alu instid0(VALU_DEP_3) | instskip(SKIP_1) | instid1(VALU_DEP_3)
	v_and_or_b32 v13, 0xffe, v17, v13
	s_wait_alu 0xf1ff
	v_cndmask_b32_e64 v14, v16, v14, s0
	v_sub_nc_u32_e32 v16, 0x3f1, v19
	v_lshl_or_b32 v1, v1, 16, v5
	v_add_co_u32 v5, s2, v6, s8
	s_delay_alu instid0(VALU_DEP_4)
	v_and_b32_e32 v17, 7, v14
	v_or_b32_e32 v20, 0x1000, v13
	v_med3_i32 v16, v16, 0, 13
	s_wait_alu 0xf1ff
	v_add_co_ci_u32_e64 v6, s2, s9, v7, s2
	v_cmp_lt_i32_e64 s0, 5, v17
	v_cmp_eq_u32_e64 s1, 3, v17
	v_lshrrev_b32_e32 v17, v16, v20
	v_lshrrev_b32_e32 v7, 2, v14
	global_store_b32 v[5:6], v1, off
	s_or_b32 s0, s1, s0
	v_lshlrev_b32_e32 v14, v16, v17
	v_mul_f16_e32 v16, v82, v18
	s_wait_alu 0xfffe
	v_add_co_ci_u32_e64 v21, s0, 0, v7, s0
	v_and_or_b32 v22, 0x1ff, v9, v8
	v_mul_f64_e32 v[7:8], s[6:7], v[10:11]
	v_cmp_ne_u32_e64 s0, v14, v20
	v_fmac_f16_e32 v16, v79, v2
	v_add_nc_u32_e32 v14, 0xfffffc10, v19
	v_bfe_u32 v20, v9, 20, 11
	v_mul_f16_e32 v2, v82, v2
	s_wait_alu 0xf1ff
	v_cndmask_b32_e64 v10, 0, 1, s0
	v_cmp_ne_u32_e64 s0, 0, v22
	v_cvt_f32_f16_e32 v11, v16
	v_lshrrev_b32_e32 v16, 8, v9
	v_lshl_or_b32 v22, v14, 12, v13
	v_or_b32_e32 v17, v17, v10
	s_wait_alu 0xf1ff
	v_cndmask_b32_e64 v19, 0, 1, s0
	v_cmp_ne_u32_e64 s0, 0, v3
	v_cvt_f64_f32_e32 v[10:11], v11
	v_fma_f16 v2, v79, v18, -v2
	v_lshrrev_b32_e32 v9, 16, v9
	v_and_or_b32 v16, 0xffe, v16, v19
	v_sub_nc_u32_e32 v19, 0x3f1, v20
	s_wait_alu 0xf1ff
	v_cndmask_b32_e64 v3, 0, 1, s0
	v_cmp_gt_i32_e64 s0, 1, v14
	s_delay_alu instid0(VALU_DEP_3) | instskip(NEXT) | instid1(VALU_DEP_3)
	v_med3_i32 v19, v19, 0, 13
	v_lshl_or_b32 v3, v3, 9, 0x7c00
	s_wait_alu 0xf1ff
	s_delay_alu instid0(VALU_DEP_3) | instskip(SKIP_2) | instid1(VALU_DEP_3)
	v_cndmask_b32_e64 v17, v22, v17, s0
	v_or_b32_e32 v22, 0x1000, v16
	v_cmp_gt_i32_e64 s0, 31, v12
	v_and_b32_e32 v23, 7, v17
	s_delay_alu instid0(VALU_DEP_3) | instskip(SKIP_1) | instid1(VALU_DEP_3)
	v_lshrrev_b32_e32 v1, v19, v22
	s_wait_alu 0xf1ff
	v_cndmask_b32_e64 v21, 0x7c00, v21, s0
	v_cmp_eq_u32_e64 s0, 0x40f, v12
	v_cmp_eq_u32_e64 s1, 3, v23
	s_wait_alu 0xf1ff
	s_delay_alu instid0(VALU_DEP_2)
	v_cndmask_b32_e64 v12, v21, v3, s0
	v_lshlrev_b32_e32 v3, v19, v1
	v_cmp_lt_i32_e64 s0, 5, v23
	v_lshrrev_b32_e32 v21, 16, v4
	v_lshrrev_b32_e32 v4, 2, v17
	v_and_or_b32 v7, 0x1ff, v8, v7
	v_cmp_ne_u32_e64 s2, v3, v22
	s_or_b32 s0, s1, s0
	v_add_nc_u32_e32 v17, 0xfffffc10, v20
	s_wait_alu 0xfffe
	v_add_co_ci_u32_e64 v18, s0, 0, v4, s0
	v_cndmask_b32_e64 v3, 0, 1, s2
	v_cmp_ne_u32_e64 s0, 0, v7
	v_lshl_or_b32 v20, v17, 12, v16
	v_lshrrev_b32_e32 v22, 8, v8
	v_bfe_u32 v23, v8, 20, 11
	v_or_b32_e32 v19, v1, v3
	v_cvt_f32_f16_e32 v3, v2
	s_wait_alu 0xf1ff
	v_cndmask_b32_e64 v7, 0, 1, s0
	v_cmp_ne_u32_e64 s0, 0, v13
	v_mul_f64_e32 v[1:2], s[6:7], v[10:11]
	ds_load_2addr_b32 v[10:11], v0 offset0:8 offset1:52
	v_cvt_f64_f32_e32 v[3:4], v3
	v_and_or_b32 v7, 0xffe, v22, v7
	s_wait_alu 0xf1ff
	v_cndmask_b32_e64 v13, 0, 1, s0
	v_cmp_gt_i32_e64 s0, 1, v17
	v_and_or_b32 v12, 0x8000, v21, v12
	v_cmp_eq_u32_e64 s2, 0x40f, v17
	v_or_b32_e32 v24, 0x1000, v7
	v_lshl_or_b32 v13, v13, 9, 0x7c00
	s_wait_alu 0xf1ff
	v_cndmask_b32_e64 v19, v20, v19, s0
	v_cmp_gt_i32_e64 s0, 31, v14
	v_sub_nc_u32_e32 v20, 0x3f1, v23
	s_delay_alu instid0(VALU_DEP_3) | instskip(SKIP_1) | instid1(VALU_DEP_3)
	v_and_b32_e32 v22, 7, v19
	s_wait_alu 0xf1ff
	v_cndmask_b32_e64 v18, 0x7c00, v18, s0
	v_cmp_eq_u32_e64 s0, 0x40f, v14
	v_med3_i32 v20, v20, 0, 13
	v_lshrrev_b32_e32 v14, 16, v15
	v_cmp_eq_u32_e64 s1, 3, v22
	s_wait_alu 0xf1ff
	v_cndmask_b32_e64 v13, v18, v13, s0
	v_lshrrev_b32_e32 v15, v20, v24
	v_cmp_lt_i32_e64 s0, 5, v22
	v_and_b32_e32 v18, 0xffff, v12
	s_delay_alu instid0(VALU_DEP_4)
	v_and_or_b32 v14, 0x8000, v14, v13
	v_lshrrev_b32_e32 v13, 2, v19
	v_lshlrev_b32_e32 v12, v20, v15
	s_or_b32 s0, s1, s0
	s_wait_dscnt 0x0
	v_lshrrev_b32_e32 v19, 16, v10
	v_add_nc_u32_e32 v20, 0xfffffc10, v23
	s_wait_alu 0xfffe
	v_add_co_ci_u32_e64 v13, s0, 0, v13, s0
	v_cmp_ne_u32_e64 s0, v12, v24
	v_lshl_or_b32 v14, v14, 16, v18
	v_and_or_b32 v1, 0x1ff, v2, v1
	v_lshrrev_b32_e32 v22, 8, v2
	s_wait_alu 0xf1ff
	v_cndmask_b32_e64 v12, 0, 1, s0
	v_cmp_gt_i32_e64 s0, 31, v17
	v_mul_f64_e32 v[3:4], s[6:7], v[3:4]
	v_bfe_u32 v23, v2, 20, 11
	v_lshrrev_b32_e32 v2, 16, v2
	v_or_b32_e32 v12, v15, v12
	s_wait_alu 0xf1ff
	v_cndmask_b32_e64 v21, 0x7c00, v13, s0
	v_mul_f16_e32 v13, v80, v19
	v_lshl_or_b32 v15, v20, 12, v7
	v_cmp_gt_i32_e64 s0, 1, v20
	v_add_nc_u32_e32 v18, 0xfffffc10, v23
	s_delay_alu instid0(VALU_DEP_4)
	v_fmac_f16_e32 v13, v77, v10
	v_mul_f16_e32 v10, v80, v10
	s_wait_alu 0xf1ff
	v_cndmask_b32_e64 v15, v15, v12, s0
	v_cmp_ne_u32_e64 s0, 0, v1
	v_cvt_f32_f16_e32 v12, v13
	v_fma_f16 v10, v77, v19, -v10
	s_delay_alu instid0(VALU_DEP_4)
	v_and_b32_e32 v24, 7, v15
	s_wait_alu 0xf1ff
	v_cndmask_b32_e64 v1, 0, 1, s0
	v_cmp_ne_u32_e64 s0, 0, v16
	v_cvt_f64_f32_e32 v[12:13], v12
	v_lshrrev_b32_e32 v15, 2, v15
	v_cmp_eq_u32_e64 s1, 3, v24
	v_and_or_b32 v1, 0xffe, v22, v1
	s_wait_alu 0xf1ff
	v_cndmask_b32_e64 v16, 0, 1, s0
	v_sub_nc_u32_e32 v22, 0x3f1, v23
	v_cmp_lt_i32_e64 s0, 5, v24
	v_or_b32_e32 v24, 0x1000, v1
	s_delay_alu instid0(VALU_DEP_4) | instskip(NEXT) | instid1(VALU_DEP_4)
	v_lshl_or_b32 v16, v16, 9, 0x7c00
	v_med3_i32 v22, v22, 0, 13
	s_delay_alu instid0(VALU_DEP_4)
	s_or_b32 s0, s1, s0
	v_lshl_or_b32 v19, v18, 12, v1
	s_wait_alu 0xfffe
	v_add_co_ci_u32_e64 v15, s0, 0, v15, s0
	v_cndmask_b32_e64 v16, v21, v16, s2
	v_lshrrev_b32_e32 v17, v22, v24
	v_cmp_gt_i32_e64 s0, 31, v20
	v_and_or_b32 v3, 0x1ff, v4, v3
	v_lshrrev_b32_e32 v21, 8, v4
	v_and_or_b32 v16, 0x8000, v9, v16
	v_lshlrev_b32_e32 v9, v22, v17
	s_wait_alu 0xf1ff
	v_cndmask_b32_e64 v15, 0x7c00, v15, s0
	v_cmp_ne_u32_e64 s0, 0, v7
	v_bfe_u32 v22, v4, 20, 11
	v_and_b32_e32 v16, 0xffff, v16
	v_cmp_eq_u32_e64 s2, 0x40f, v18
	s_wait_alu 0xf1ff
	v_cndmask_b32_e64 v7, 0, 1, s0
	v_cmp_ne_u32_e64 s0, v9, v24
	s_delay_alu instid0(VALU_DEP_2) | instskip(SKIP_1) | instid1(VALU_DEP_2)
	v_lshl_or_b32 v7, v7, 9, 0x7c00
	s_wait_alu 0xf1ff
	v_cndmask_b32_e64 v9, 0, 1, s0
	v_cmp_ne_u32_e64 s0, 0, v3
	v_mul_f64_e32 v[12:13], s[6:7], v[12:13]
	s_delay_alu instid0(VALU_DEP_3)
	v_or_b32_e32 v17, v17, v9
	v_cvt_f32_f16_e32 v9, v10
	s_wait_alu 0xf1ff
	v_cndmask_b32_e64 v3, 0, 1, s0
	v_cmp_eq_u32_e64 s0, 0x40f, v20
	v_lshrrev_b32_e32 v20, 16, v8
	v_cvt_f64_f32_e32 v[9:10], v9
	s_delay_alu instid0(VALU_DEP_4)
	v_and_or_b32 v3, 0xffe, v21, v3
	s_wait_alu 0xf1ff
	v_cndmask_b32_e64 v15, v15, v7, s0
	v_cmp_gt_i32_e64 s0, 1, v18
	v_sub_nc_u32_e32 v7, 0x3f1, v22
	v_or_b32_e32 v23, 0x1000, v3
	s_delay_alu instid0(VALU_DEP_4)
	v_and_or_b32 v15, 0x8000, v20, v15
	s_wait_alu 0xf1ff
	v_cndmask_b32_e64 v17, v19, v17, s0
	v_add_nc_u32_e32 v19, 0xa00, v63
	v_med3_i32 v24, v7, 0, 13
	v_add_co_u32 v5, s0, v5, s4
	s_delay_alu instid0(VALU_DEP_4)
	v_and_b32_e32 v21, 7, v17
	s_wait_alu 0xf1ff
	v_add_co_ci_u32_e64 v6, s0, s5, v6, s0
	ds_load_2addr_b32 v[7:8], v19 offset0:86 offset1:130
	v_lshrrev_b32_e32 v19, v24, v23
	v_cmp_lt_i32_e64 s0, 5, v21
	v_cmp_eq_u32_e64 s1, 3, v21
	global_store_b32 v[5:6], v14, off
	v_lshrrev_b32_e32 v14, 2, v17
	v_lshlrev_b32_e32 v17, v24, v19
	v_lshl_or_b32 v20, v15, 16, v16
	s_or_b32 s0, s1, s0
	v_add_nc_u32_e32 v16, 0xfffffc10, v22
	s_wait_alu 0xfffe
	v_add_co_ci_u32_e64 v14, s0, 0, v14, s0
	v_cmp_ne_u32_e64 s0, v17, v23
	v_and_or_b32 v12, 0x1ff, v13, v12
	v_bfe_u32 v23, v13, 20, 11
	s_wait_alu 0xf1ff
	s_delay_alu instid0(VALU_DEP_3)
	v_cndmask_b32_e64 v15, 0, 1, s0
	v_cmp_gt_i32_e64 s0, 31, v18
	s_wait_dscnt 0x0
	v_lshrrev_b32_e32 v21, 16, v7
	v_mul_f64_e32 v[9:10], s[6:7], v[9:10]
	s_wait_alu 0xf1ff
	v_cndmask_b32_e64 v17, 0x7c00, v14, s0
	v_cmp_ne_u32_e64 s0, 0, v1
	v_or_b32_e32 v14, v19, v15
	v_lshl_or_b32 v15, v16, 12, v3
	v_mul_f16_e32 v19, v78, v21
	s_wait_alu 0xf1ff
	v_cndmask_b32_e64 v1, 0, 1, s0
	v_cmp_gt_i32_e64 s0, 1, v16
	s_delay_alu instid0(VALU_DEP_3) | instskip(SKIP_1) | instid1(VALU_DEP_4)
	v_fmac_f16_e32 v19, v76, v7
	v_mul_f16_e32 v7, v78, v7
	v_lshl_or_b32 v1, v1, 9, 0x7c00
	s_wait_alu 0xf1ff
	v_cndmask_b32_e64 v22, v15, v14, s0
	v_cmp_ne_u32_e64 s0, 0, v12
	v_lshrrev_b32_e32 v14, 8, v13
	v_cvt_f32_f16_e32 v15, v19
	v_sub_nc_u32_e32 v19, 0x3f1, v23
	v_and_b32_e32 v24, 7, v22
	s_wait_alu 0xf1ff
	v_cndmask_b32_e64 v12, 0, 1, s0
	v_cndmask_b32_e64 v1, v17, v1, s2
	v_lshrrev_b32_e32 v17, 2, v22
	v_med3_i32 v19, v19, 0, 13
	v_cmp_lt_i32_e64 s0, 5, v24
	v_and_or_b32 v12, 0xffe, v14, v12
	v_cmp_eq_u32_e64 s1, 3, v24
	v_cvt_f64_f32_e32 v[14:15], v15
	v_and_or_b32 v22, 0x8000, v2, v1
	v_fma_f16 v7, v76, v21, -v7
	v_or_b32_e32 v24, 0x1000, v12
	s_or_b32 s0, s1, s0
	v_lshrrev_b32_e32 v13, 16, v13
	s_wait_alu 0xfffe
	v_add_co_ci_u32_e64 v17, s0, 0, v17, s0
	v_lshrrev_b32_e32 v18, v19, v24
	v_cmp_ne_u32_e64 s0, 0, v3
	v_cvt_f32_f16_e32 v7, v7
	v_and_or_b32 v2, 0x1ff, v10, v9
	s_delay_alu instid0(VALU_DEP_4)
	v_lshlrev_b32_e32 v1, v19, v18
	s_wait_alu 0xf1ff
	v_cndmask_b32_e64 v3, 0, 1, s0
	v_cmp_gt_i32_e64 s0, 31, v16
	v_add_nc_u32_e32 v9, 0xfffffc10, v23
	v_lshrrev_b32_e32 v19, 8, v10
	v_bfe_u32 v23, v10, 20, 11
	v_lshl_or_b32 v3, v3, 9, 0x7c00
	s_wait_alu 0xf1ff
	v_cndmask_b32_e64 v17, 0x7c00, v17, s0
	v_cmp_ne_u32_e64 s0, v1, v24
	s_wait_alu 0xf1ff
	s_delay_alu instid0(VALU_DEP_1) | instskip(SKIP_1) | instid1(VALU_DEP_2)
	v_cndmask_b32_e64 v1, 0, 1, s0
	v_cmp_ne_u32_e64 s0, 0, v2
	v_or_b32_e32 v1, v18, v1
	s_wait_alu 0xf1ff
	s_delay_alu instid0(VALU_DEP_2) | instskip(SKIP_2) | instid1(VALU_DEP_3)
	v_cndmask_b32_e64 v2, 0, 1, s0
	v_lshl_or_b32 v18, v9, 12, v12
	v_cmp_gt_i32_e64 s0, 1, v9
	v_and_or_b32 v19, 0xffe, v19, v2
	v_sub_nc_u32_e32 v2, 0x3f1, v23
	s_wait_alu 0xf1ff
	s_delay_alu instid0(VALU_DEP_3)
	v_cndmask_b32_e64 v18, v18, v1, s0
	v_cmp_eq_u32_e64 s0, 0x40f, v16
	v_lshrrev_b32_e32 v16, 16, v4
	v_or_b32_e32 v21, 0x1000, v19
	v_med3_i32 v24, v2, 0, 13
	v_mul_f64_e32 v[1:2], s[6:7], v[14:15]
	v_cvt_f64_f32_e32 v[14:15], v7
	s_wait_alu 0xf1ff
	v_cndmask_b32_e64 v7, v17, v3, s0
	v_and_b32_e32 v17, 7, v18
	v_lshrrev_b32_e32 v25, v24, v21
	v_add_co_u32 v3, s0, v5, s8
	s_wait_alu 0xf1ff
	v_add_co_ci_u32_e64 v4, s0, s9, v6, s0
	s_delay_alu instid0(VALU_DEP_3)
	v_lshlrev_b32_e32 v6, v24, v25
	v_cmp_lt_i32_e64 s0, 5, v17
	v_cmp_eq_u32_e64 s1, 3, v17
	v_and_or_b32 v5, 0x8000, v16, v7
	v_lshrrev_b32_e32 v16, 2, v18
	v_cmp_ne_u32_e64 s2, v6, v21
	v_add_nc_u32_e32 v17, 0xfffffc10, v23
	s_or_b32 s0, s1, s0
	v_lshrrev_b32_e32 v21, 16, v11
	s_wait_alu 0xfffe
	v_add_co_ci_u32_e64 v16, s0, 0, v16, s0
	v_cndmask_b32_e64 v6, 0, 1, s2
	v_cmp_ne_u32_e64 s0, 0, v12
	v_lshl_or_b32 v18, v17, 12, v19
	v_and_b32_e32 v7, 0xffff, v22
	v_mul_f16_e32 v22, v75, v21
	v_or_b32_e32 v6, v25, v6
	s_wait_alu 0xf1ff
	v_cndmask_b32_e64 v12, 0, 1, s0
	v_cmp_gt_i32_e64 s0, 1, v17
	v_lshl_or_b32 v7, v5, 16, v7
	v_fmac_f16_e32 v22, v73, v11
	v_mul_f16_e32 v11, v75, v11
	v_lshl_or_b32 v12, v12, 9, 0x7c00
	s_wait_alu 0xf1ff
	v_cndmask_b32_e64 v18, v18, v6, s0
	v_cmp_gt_i32_e64 s0, 31, v9
	global_store_b32 v[3:4], v20, off
	v_fma_f16 v11, v73, v21, -v11
	s_wait_alu 0xf1ff
	v_cndmask_b32_e64 v6, 0x7c00, v16, s0
	v_cmp_eq_u32_e64 s0, 0x40f, v9
	v_and_or_b32 v1, 0x1ff, v2, v1
	v_cvt_f32_f16_e32 v9, v22
	v_and_b32_e32 v16, 7, v18
	v_cvt_f32_f16_e32 v11, v11
	s_wait_alu 0xf1ff
	v_cndmask_b32_e64 v23, v6, v12, s0
	v_mul_f64_e32 v[5:6], s[6:7], v[14:15]
	v_cmp_ne_u32_e64 s2, 0, v1
	v_cvt_f64_f32_e32 v[14:15], v9
	v_cmp_lt_i32_e64 s0, 5, v16
	v_cmp_eq_u32_e64 s1, 3, v16
	v_lshrrev_b32_e32 v12, 2, v18
	s_wait_alu 0xf1ff
	v_cndmask_b32_e64 v1, 0, 1, s2
	v_lshrrev_b32_e32 v9, 8, v2
	v_bfe_u32 v16, v2, 20, 11
	s_or_b32 s0, s1, s0
	v_and_or_b32 v23, 0x8000, v13, v23
	s_wait_alu 0xfffe
	v_add_co_ci_u32_e64 v12, s0, 0, v12, s0
	v_and_or_b32 v1, 0xffe, v9, v1
	v_sub_nc_u32_e32 v9, 0x3f1, v16
	v_cmp_ne_u32_e64 s0, 0, v19
	s_delay_alu instid0(VALU_DEP_3) | instskip(NEXT) | instid1(VALU_DEP_3)
	v_or_b32_e32 v19, 0x1000, v1
	v_med3_i32 v9, v9, 0, 13
	s_wait_alu 0xf1ff
	s_delay_alu instid0(VALU_DEP_3) | instskip(SKIP_1) | instid1(VALU_DEP_3)
	v_cndmask_b32_e64 v18, 0, 1, s0
	v_cmp_gt_i32_e64 s0, 31, v17
	v_lshrrev_b32_e32 v21, v9, v19
	s_delay_alu instid0(VALU_DEP_3) | instskip(SKIP_1) | instid1(VALU_DEP_3)
	v_lshl_or_b32 v18, v18, 9, 0x7c00
	s_wait_alu 0xf1ff
	v_cndmask_b32_e64 v12, 0x7c00, v12, s0
	v_cmp_eq_u32_e64 s0, 0x40f, v17
	v_lshlrev_b32_e32 v22, v9, v21
	s_wait_alu 0xf1ff
	s_delay_alu instid0(VALU_DEP_2)
	v_cndmask_b32_e64 v17, v12, v18, s0
	v_lshrrev_b32_e32 v18, 16, v10
	v_cvt_f64_f32_e32 v[9:10], v11
	v_add_co_u32 v11, s0, v3, s4
	s_wait_alu 0xf1ff
	v_add_co_ci_u32_e64 v12, s0, s5, v4, s0
	v_and_or_b32 v5, 0x1ff, v6, v5
	v_cmp_ne_u32_e64 s0, v22, v19
	v_and_or_b32 v17, 0x8000, v18, v17
	v_mul_f64_e32 v[13:14], s[6:7], v[14:15]
	v_add_nc_u32_e32 v19, 0xfffffc10, v16
	v_lshrrev_b32_e32 v16, 8, v6
	s_wait_alu 0xf1ff
	v_cndmask_b32_e64 v18, 0, 1, s0
	v_cmp_ne_u32_e64 s0, 0, v5
	v_bfe_u32 v22, v6, 20, 11
	v_and_b32_e32 v15, 0xffff, v23
	s_delay_alu instid0(VALU_DEP_4)
	v_or_b32_e32 v18, v21, v18
	s_wait_alu 0xf1ff
	v_cndmask_b32_e64 v5, 0, 1, s0
	v_lshl_or_b32 v21, v19, 12, v1
	v_cmp_gt_i32_e64 s0, 1, v19
	v_lshl_or_b32 v17, v17, 16, v15
	s_delay_alu instid0(VALU_DEP_4)
	v_and_or_b32 v5, 0xffe, v16, v5
	v_sub_nc_u32_e32 v16, 0x3f1, v22
	s_wait_alu 0xf1ff
	v_cndmask_b32_e64 v18, v21, v18, s0
	v_add_co_u32 v15, s0, v11, s8
	v_or_b32_e32 v21, 0x1000, v5
	v_med3_i32 v23, v16, 0, 13
	s_wait_alu 0xf1ff
	v_add_co_ci_u32_e64 v16, s0, s9, v12, s0
	v_and_b32_e32 v3, 7, v18
	global_store_b32 v[11:12], v7, off
	global_store_b32 v[15:16], v17, off
	v_lshrrev_b32_e32 v20, v23, v21
	v_lshrrev_b32_e32 v7, 16, v8
	v_cmp_lt_i32_e64 s0, 5, v3
	v_cmp_eq_u32_e64 s1, 3, v3
	v_mul_f64_e32 v[3:4], s[6:7], v[9:10]
	v_lshlrev_b32_e32 v11, v23, v20
	v_lshrrev_b32_e32 v10, 2, v18
	v_add_nc_u32_e32 v12, 0xfffffc10, v22
	s_or_b32 s0, s1, s0
	v_mul_f16_e32 v9, v74, v7
	v_cmp_ne_u32_e64 s2, v11, v21
	s_wait_alu 0xfffe
	v_add_co_ci_u32_e64 v17, s0, 0, v10, s0
	v_cmp_ne_u32_e64 s0, 0, v1
	v_lshl_or_b32 v18, v12, 12, v5
	s_wait_alu 0xf1ff
	v_cndmask_b32_e64 v11, 0, 1, s2
	v_and_or_b32 v13, 0x1ff, v14, v13
	v_fmac_f16_e32 v9, v72, v8
	v_cndmask_b32_e64 v1, 0, 1, s0
	v_cmp_gt_i32_e64 s0, 1, v12
	v_or_b32_e32 v11, v20, v11
	v_bfe_u32 v20, v14, 20, 11
	v_cvt_f32_f16_e32 v9, v9
	v_lshl_or_b32 v1, v1, 9, 0x7c00
	v_mul_f16_e32 v8, v74, v8
	s_wait_alu 0xf1ff
	v_cndmask_b32_e64 v11, v18, v11, s0
	v_cmp_ne_u32_e64 s0, 0, v13
	v_lshrrev_b32_e32 v18, 8, v14
	v_cvt_f64_f32_e32 v[9:10], v9
	v_fma_f16 v7, v72, v7, -v8
	v_and_b32_e32 v21, 7, v11
	s_wait_alu 0xf1ff
	v_cndmask_b32_e64 v13, 0, 1, s0
	v_cmp_gt_i32_e64 s0, 31, v19
	v_cvt_f32_f16_e32 v7, v7
	v_cmp_eq_u32_e64 s1, 3, v21
	s_delay_alu instid0(VALU_DEP_4)
	v_and_or_b32 v13, 0xffe, v18, v13
	s_wait_alu 0xf1ff
	v_cndmask_b32_e64 v17, 0x7c00, v17, s0
	v_sub_nc_u32_e32 v18, 0x3f1, v20
	v_cmp_eq_u32_e64 s0, 0x40f, v19
	v_lshrrev_b32_e32 v19, 16, v2
	v_lshrrev_b32_e32 v2, 2, v11
	v_and_or_b32 v3, 0x1ff, v4, v3
	v_med3_i32 v18, v18, 0, 13
	s_wait_alu 0xf1ff
	v_cndmask_b32_e64 v17, v17, v1, s0
	v_or_b32_e32 v1, 0x1000, v13
	v_cmp_lt_i32_e64 s0, 5, v21
	v_lshrrev_b32_e32 v8, 8, v4
	v_add_nc_u32_e32 v20, 0xfffffc10, v20
	s_delay_alu instid0(VALU_DEP_4) | instskip(NEXT) | instid1(VALU_DEP_4)
	v_lshrrev_b32_e32 v11, v18, v1
	s_or_b32 s0, s1, s0
	s_wait_alu 0xfffe
	v_add_co_ci_u32_e64 v21, s0, 0, v2, s0
	s_delay_alu instid0(VALU_DEP_2) | instskip(SKIP_3) | instid1(VALU_DEP_2)
	v_lshlrev_b32_e32 v2, v18, v11
	v_cmp_ne_u32_e64 s0, 0, v3
	v_bfe_u32 v18, v4, 20, 11
	s_wait_alu 0xf1ff
	v_cndmask_b32_e64 v3, 0, 1, s0
	v_cmp_ne_u32_e64 s0, v2, v1
	s_delay_alu instid0(VALU_DEP_3) | instskip(NEXT) | instid1(VALU_DEP_3)
	v_sub_nc_u32_e32 v23, 0x3f1, v18
	v_and_or_b32 v3, 0xffe, v8, v3
	s_wait_alu 0xf1ff
	s_delay_alu instid0(VALU_DEP_3)
	v_cndmask_b32_e64 v22, 0, 1, s0
	v_cmp_ne_u32_e64 s0, 0, v5
	v_mul_f64_e32 v[1:2], s[6:7], v[9:10]
	v_lshl_or_b32 v10, v20, 12, v13
	v_cvt_f64_f32_e32 v[7:8], v7
	v_or_b32_e32 v9, v11, v22
	s_wait_alu 0xf1ff
	v_cndmask_b32_e64 v5, 0, 1, s0
	v_cmp_gt_i32_e64 s0, 31, v12
	v_or_b32_e32 v11, 0x1000, v3
	v_med3_i32 v22, v23, 0, 13
	s_delay_alu instid0(VALU_DEP_4) | instskip(SKIP_4) | instid1(VALU_DEP_1)
	v_lshl_or_b32 v5, v5, 9, 0x7c00
	s_wait_alu 0xf1ff
	v_cndmask_b32_e64 v21, 0x7c00, v21, s0
	v_cmp_gt_i32_e64 s0, 1, v20
	s_wait_alu 0xf1ff
	v_cndmask_b32_e64 v9, v10, v9, s0
	v_lshrrev_b32_e32 v10, v22, v11
	v_cmp_eq_u32_e64 s0, 0x40f, v12
	s_delay_alu instid0(VALU_DEP_3) | instskip(NEXT) | instid1(VALU_DEP_3)
	v_and_b32_e32 v23, 7, v9
	v_lshlrev_b32_e32 v22, v22, v10
	s_wait_alu 0xf1ff
	s_delay_alu instid0(VALU_DEP_3)
	v_cndmask_b32_e64 v12, v21, v5, s0
	v_lshrrev_b32_e32 v21, 16, v6
	ds_load_2addr_b32 v[5:6], v0 offset0:96 offset1:140
	v_and_or_b32 v0, 0x8000, v19, v17
	v_cmp_ne_u32_e64 s1, v22, v11
	v_cmp_lt_i32_e64 s0, 5, v23
	v_add_nc_u32_e32 v17, 0xfffffc10, v18
	v_and_or_b32 v12, 0x8000, v21, v12
	v_and_b32_e32 v18, 0xffff, v0
	s_wait_alu 0xf1ff
	v_cndmask_b32_e64 v11, 0, 1, s1
	v_cmp_eq_u32_e64 s1, 3, v23
	v_lshrrev_b32_e32 v0, 2, v9
	v_lshl_or_b32 v18, v12, 16, v18
	s_delay_alu instid0(VALU_DEP_4) | instskip(NEXT) | instid1(VALU_DEP_4)
	v_or_b32_e32 v9, v10, v11
	s_or_b32 s0, s1, s0
	v_lshl_or_b32 v10, v17, 12, v3
	s_wait_alu 0xfffe
	v_add_co_ci_u32_e64 v11, s0, 0, v0, s0
	v_cmp_ne_u32_e64 s0, 0, v13
	v_lshrrev_b32_e32 v21, 8, v2
	v_bfe_u32 v22, v2, 20, 11
	s_wait_dscnt 0x0
	v_lshrrev_b32_e32 v19, 16, v5
	s_wait_alu 0xf1ff
	v_cndmask_b32_e64 v13, 0, 1, s0
	v_cmp_gt_i32_e64 s0, 1, v17
	s_wait_alu 0xf1ff
	s_delay_alu instid0(VALU_DEP_1)
	v_cndmask_b32_e64 v9, v10, v9, s0
	v_and_or_b32 v10, 0x1ff, v2, v1
	v_cmp_gt_i32_e64 s0, 31, v20
	v_mul_f64_e32 v[0:1], s[6:7], v[7:8]
	v_lshl_or_b32 v8, v13, 9, 0x7c00
	v_and_b32_e32 v13, 7, v9
	v_lshrrev_b32_e32 v9, 2, v9
	s_wait_alu 0xf1ff
	v_cndmask_b32_e64 v7, 0x7c00, v11, s0
	v_mul_f16_e32 v11, v71, v19
	v_cmp_ne_u32_e64 s0, 0, v10
	v_cmp_eq_u32_e64 s1, 3, v13
	v_lshrrev_b32_e32 v2, 16, v2
	s_delay_alu instid0(VALU_DEP_4) | instskip(SKIP_4) | instid1(VALU_DEP_3)
	v_fmac_f16_e32 v11, v70, v5
	s_wait_alu 0xf1ff
	v_cndmask_b32_e64 v10, 0, 1, s0
	v_cmp_eq_u32_e64 s0, 0x40f, v20
	v_mul_f16_e32 v5, v71, v5
	v_and_or_b32 v21, 0xffe, v21, v10
	s_wait_alu 0xf1ff
	s_delay_alu instid0(VALU_DEP_3)
	v_cndmask_b32_e64 v20, v7, v8, s0
	v_cmp_lt_i32_e64 s0, 5, v13
	v_cvt_f32_f16_e32 v7, v11
	v_sub_nc_u32_e32 v10, 0x3f1, v22
	v_or_b32_e32 v11, 0x1000, v21
	v_lshrrev_b32_e32 v13, 16, v14
	s_or_b32 s0, s1, s0
	v_cvt_f64_f32_e32 v[7:8], v7
	s_wait_alu 0xfffe
	v_add_co_ci_u32_e64 v9, s0, 0, v9, s0
	v_cmp_ne_u32_e64 s0, 0, v3
	v_med3_i32 v10, v10, 0, 13
	v_and_or_b32 v13, 0x8000, v13, v20
	v_lshrrev_b32_e32 v20, 16, v4
	s_wait_alu 0xf1ff
	v_cndmask_b32_e64 v3, 0, 1, s0
	v_cmp_gt_i32_e64 s0, 31, v17
	v_lshrrev_b32_e32 v14, v10, v11
	v_and_b32_e32 v13, 0xffff, v13
	s_delay_alu instid0(VALU_DEP_4)
	v_lshl_or_b32 v3, v3, 9, 0x7c00
	s_wait_alu 0xf1ff
	v_cndmask_b32_e64 v9, 0x7c00, v9, s0
	v_cmp_eq_u32_e64 s0, 0x40f, v17
	v_lshlrev_b32_e32 v10, v10, v14
	v_and_or_b32 v0, 0x1ff, v1, v0
	s_wait_alu 0xf1ff
	s_delay_alu instid0(VALU_DEP_3)
	v_cndmask_b32_e64 v17, v9, v3, s0
	v_fma_f16 v3, v70, v19, -v5
	v_cmp_ne_u32_e64 s0, v10, v11
	v_add_nc_u32_e32 v19, 0xfffffc10, v22
	v_lshrrev_b32_e32 v9, 8, v1
	v_bfe_u32 v22, v1, 20, 11
	v_cvt_f32_f16_e32 v3, v3
	s_wait_alu 0xf1ff
	v_cndmask_b32_e64 v5, 0, 1, s0
	v_cmp_ne_u32_e64 s0, 0, v0
	v_add_nc_u32_e32 v10, 0xc00, v63
	v_lshl_or_b32 v11, v19, 12, v21
	v_cvt_f64_f32_e32 v[3:4], v3
	v_or_b32_e32 v5, v14, v5
	s_wait_alu 0xf1ff
	v_cndmask_b32_e64 v0, 0, 1, s0
	v_sub_nc_u32_e32 v14, 0x3f1, v22
	v_cmp_gt_i32_e64 s0, 1, v19
	v_and_or_b32 v17, 0x8000, v20, v17
	v_add_nc_u32_e32 v22, 0xfffffc10, v22
	v_and_or_b32 v0, 0xffe, v9, v0
	ds_load_2addr_b32 v[9:10], v10 offset0:46 offset1:90
	v_mul_f64_e32 v[7:8], s[6:7], v[7:8]
	v_med3_i32 v14, v14, 0, 13
	s_wait_alu 0xf1ff
	v_cndmask_b32_e64 v5, v11, v5, s0
	v_or_b32_e32 v23, 0x1000, v0
	v_add_co_u32 v11, s0, v15, s4
	v_lshl_or_b32 v17, v17, 16, v13
	s_delay_alu instid0(VALU_DEP_4) | instskip(NEXT) | instid1(VALU_DEP_4)
	v_and_b32_e32 v20, 7, v5
	v_lshrrev_b32_e32 v24, v14, v23
	s_wait_alu 0xf1ff
	v_add_co_ci_u32_e64 v12, s0, s5, v16, s0
	v_lshrrev_b32_e32 v5, 2, v5
	v_cmp_lt_i32_e64 s0, 5, v20
	v_lshlrev_b32_e32 v13, v14, v24
	v_cmp_eq_u32_e64 s1, 3, v20
	v_lshl_or_b32 v15, v22, 12, v0
	s_delay_alu instid0(VALU_DEP_3)
	v_cmp_ne_u32_e64 s2, v13, v23
	s_wait_dscnt 0x0
	v_lshrrev_b32_e32 v20, 16, v9
	s_or_b32 s0, s1, s0
	s_wait_alu 0xfffe
	v_add_co_ci_u32_e64 v5, s0, 0, v5, s0
	v_cndmask_b32_e64 v13, 0, 1, s2
	v_mul_f16_e32 v14, v69, v20
	v_cmp_ne_u32_e64 s0, 0, v21
	s_delay_alu instid0(VALU_DEP_3) | instskip(NEXT) | instid1(VALU_DEP_3)
	v_or_b32_e32 v13, v24, v13
	v_fmac_f16_e32 v14, v68, v9
	s_wait_alu 0xf1ff
	s_delay_alu instid0(VALU_DEP_3) | instskip(SKIP_3) | instid1(VALU_DEP_4)
	v_cndmask_b32_e64 v16, 0, 1, s0
	v_mul_f64_e32 v[3:4], s[6:7], v[3:4]
	v_cmp_gt_i32_e64 s0, 1, v22
	v_mul_f16_e32 v9, v69, v9
	v_lshl_or_b32 v23, v16, 9, 0x7c00
	s_wait_alu 0xf1ff
	s_delay_alu instid0(VALU_DEP_3)
	v_cndmask_b32_e64 v21, v15, v13, s0
	v_cvt_f32_f16_e32 v13, v14
	v_cmp_gt_i32_e64 s0, 31, v19
	v_and_or_b32 v7, 0x1ff, v8, v7
	v_fma_f16 v9, v68, v20, -v9
	v_and_b32_e32 v24, 7, v21
	v_cvt_f64_f32_e32 v[13:14], v13
	s_wait_alu 0xf1ff
	v_cndmask_b32_e64 v5, 0x7c00, v5, s0
	v_add_co_u32 v15, s0, v11, s8
	s_wait_alu 0xf1ff
	v_add_co_ci_u32_e64 v16, s0, s9, v12, s0
	v_cmp_eq_u32_e64 s0, 0x40f, v19
	v_cmp_ne_u32_e64 s1, 0, v7
	v_lshrrev_b32_e32 v21, 2, v21
	v_lshrrev_b32_e32 v19, 8, v8
	global_store_b32 v[11:12], v18, off
	global_store_b32 v[15:16], v17, off
	s_wait_alu 0xf1ff
	v_cndmask_b32_e64 v5, v5, v23, s0
	v_cmp_lt_i32_e64 s0, 5, v24
	v_cndmask_b32_e64 v7, 0, 1, s1
	v_cmp_eq_u32_e64 s1, 3, v24
	v_bfe_u32 v23, v8, 20, 11
	v_and_or_b32 v5, 0x8000, v2, v5
	v_lshrrev_b32_e32 v8, 16, v8
	v_and_or_b32 v7, 0xffe, v19, v7
	s_or_b32 s0, s1, s0
	v_sub_nc_u32_e32 v19, 0x3f1, v23
	s_wait_alu 0xfffe
	v_add_co_ci_u32_e64 v21, s0, 0, v21, s0
	v_cmp_ne_u32_e64 s0, 0, v0
	v_or_b32_e32 v24, 0x1000, v7
	v_med3_i32 v19, v19, 0, 13
	v_and_or_b32 v3, 0x1ff, v4, v3
	v_lshrrev_b32_e32 v25, 8, v4
	s_wait_alu 0xf1ff
	v_cndmask_b32_e64 v0, 0, 1, s0
	v_cmp_gt_i32_e64 s0, 31, v22
	v_lshrrev_b32_e32 v2, v19, v24
	v_bfe_u32 v26, v4, 20, 11
	v_and_b32_e32 v5, 0xffff, v5
	v_lshl_or_b32 v0, v0, 9, 0x7c00
	s_wait_alu 0xf1ff
	v_cndmask_b32_e64 v21, 0x7c00, v21, s0
	v_cmp_eq_u32_e64 s0, 0x40f, v22
	v_lshlrev_b32_e32 v19, v19, v2
	v_lshrrev_b32_e32 v22, 16, v1
	v_lshrrev_b32_e32 v4, 16, v4
	s_wait_alu 0xf1ff
	v_cndmask_b32_e64 v21, v21, v0, s0
	v_cmp_ne_u32_e64 s0, 0, v3
	v_mul_f64_e32 v[0:1], s[6:7], v[13:14]
	s_delay_alu instid0(VALU_DEP_3) | instskip(SKIP_1) | instid1(VALU_DEP_3)
	v_and_or_b32 v21, 0x8000, v22, v21
	s_wait_alu 0xf1ff
	v_cndmask_b32_e64 v3, 0, 1, s0
	v_cmp_ne_u32_e64 s0, v19, v24
	v_add_nc_u32_e32 v19, 0xfffffc10, v23
	v_lshl_or_b32 v17, v21, 16, v5
	s_delay_alu instid0(VALU_DEP_4)
	v_and_or_b32 v20, 0xffe, v25, v3
	s_wait_alu 0xf1ff
	v_cndmask_b32_e64 v13, 0, 1, s0
	v_cvt_f32_f16_e32 v3, v9
	v_sub_nc_u32_e32 v9, 0x3f1, v26
	v_lshl_or_b32 v14, v19, 12, v7
	v_or_b32_e32 v23, 0x1000, v20
	v_or_b32_e32 v13, v2, v13
	v_cmp_gt_i32_e64 s0, 1, v19
	v_med3_i32 v9, v9, 0, 13
	v_cvt_f64_f32_e32 v[2:3], v3
	v_cmp_eq_u32_e64 s2, 0x40f, v19
	s_wait_alu 0xf1ff
	v_cndmask_b32_e64 v13, v14, v13, s0
	v_lshrrev_b32_e32 v14, v9, v23
	v_add_co_u32 v11, s0, v15, s4
	v_lshrrev_b32_e32 v15, 16, v6
	s_delay_alu instid0(VALU_DEP_4) | instskip(NEXT) | instid1(VALU_DEP_4)
	v_and_b32_e32 v5, 7, v13
	v_lshlrev_b32_e32 v9, v9, v14
	s_wait_alu 0xf1ff
	v_add_co_ci_u32_e64 v12, s0, s5, v16, s0
	v_add_nc_u32_e32 v16, 0xfffffc10, v26
	v_cmp_lt_i32_e64 s0, 5, v5
	v_cmp_ne_u32_e64 s1, v9, v23
	v_mul_f16_e32 v18, v67, v15
	s_wait_alu 0xf1ff
	s_delay_alu instid0(VALU_DEP_2)
	v_cndmask_b32_e64 v9, 0, 1, s1
	v_cmp_eq_u32_e64 s1, 3, v5
	v_lshrrev_b32_e32 v5, 2, v13
	v_lshl_or_b32 v13, v16, 12, v20
	v_fmac_f16_e32 v18, v65, v6
	v_or_b32_e32 v9, v14, v9
	s_or_b32 s0, s1, s0
	v_and_or_b32 v0, 0x1ff, v1, v0
	s_wait_alu 0xfffe
	v_add_co_ci_u32_e64 v5, s0, 0, v5, s0
	v_cmp_gt_i32_e64 s0, 1, v16
	v_cvt_f32_f16_e32 v14, v18
	v_lshrrev_b32_e32 v18, 8, v1
	v_bfe_u32 v21, v1, 20, 11
	v_lshrrev_b32_e32 v1, 16, v1
	s_wait_alu 0xf1ff
	v_cndmask_b32_e64 v9, v13, v9, s0
	v_cmp_ne_u32_e64 s0, 0, v0
	v_cvt_f64_f32_e32 v[13:14], v14
	v_mul_f64_e32 v[2:3], s[6:7], v[2:3]
	s_delay_alu instid0(VALU_DEP_4)
	v_and_b32_e32 v22, 7, v9
	s_wait_alu 0xf1ff
	v_cndmask_b32_e64 v0, 0, 1, s0
	v_cmp_ne_u32_e64 s0, 0, v7
	v_lshrrev_b32_e32 v9, 2, v9
	v_cmp_eq_u32_e64 s1, 3, v22
	s_delay_alu instid0(VALU_DEP_4)
	v_and_or_b32 v0, 0xffe, v18, v0
	s_wait_alu 0xf1ff
	v_cndmask_b32_e64 v7, 0, 1, s0
	v_cmp_gt_i32_e64 s0, 31, v19
	v_sub_nc_u32_e32 v18, 0x3f1, v21
	v_add_nc_u32_e32 v21, 0xfffffc10, v21
	v_or_b32_e32 v23, 0x1000, v0
	v_lshl_or_b32 v7, v7, 9, 0x7c00
	s_wait_alu 0xf1ff
	v_cndmask_b32_e64 v5, 0x7c00, v5, s0
	v_cmp_lt_i32_e64 s0, 5, v22
	v_med3_i32 v18, v18, 0, 13
	s_delay_alu instid0(VALU_DEP_3) | instskip(NEXT) | instid1(VALU_DEP_3)
	v_cndmask_b32_e64 v5, v5, v7, s2
	s_or_b32 s0, s1, s0
	s_delay_alu instid0(VALU_DEP_2)
	v_lshrrev_b32_e32 v7, v18, v23
	s_wait_alu 0xfffe
	v_add_co_ci_u32_e64 v9, s0, 0, v9, s0
	v_cmp_ne_u32_e64 s0, 0, v20
	v_and_or_b32 v20, 0x8000, v8, v5
	v_lshlrev_b32_e32 v18, v18, v7
	s_wait_alu 0xf1ff
	s_delay_alu instid0(VALU_DEP_3) | instskip(SKIP_1) | instid1(VALU_DEP_2)
	v_cndmask_b32_e64 v19, 0, 1, s0
	v_cmp_gt_i32_e64 s0, 31, v16
	v_lshl_or_b32 v19, v19, 9, 0x7c00
	s_wait_alu 0xf1ff
	s_delay_alu instid0(VALU_DEP_2) | instskip(SKIP_3) | instid1(VALU_DEP_2)
	v_cndmask_b32_e64 v9, 0x7c00, v9, s0
	v_cmp_ne_u32_e64 s0, v18, v23
	v_and_or_b32 v2, 0x1ff, v3, v2
	s_wait_alu 0xf1ff
	v_cndmask_b32_e64 v18, 0, 1, s0
	v_cmp_eq_u32_e64 s0, 0x40f, v16
	v_lshrrev_b32_e32 v16, 16, v10
	s_delay_alu instid0(VALU_DEP_3) | instskip(SKIP_1) | instid1(VALU_DEP_3)
	v_or_b32_e32 v7, v7, v18
	s_wait_alu 0xf1ff
	v_cndmask_b32_e64 v8, v9, v19, s0
	v_mul_f16_e32 v9, v67, v6
	v_mul_f64_e32 v[5:6], s[6:7], v[13:14]
	v_lshl_or_b32 v13, v21, 12, v0
	v_cmp_gt_i32_e64 s0, 1, v21
	v_bfe_u32 v14, v3, 20, 11
	v_fma_f16 v9, v65, v15, -v9
	v_and_or_b32 v4, 0x8000, v4, v8
	v_and_b32_e32 v18, 0xffff, v20
	s_wait_alu 0xf1ff
	v_cndmask_b32_e64 v13, v13, v7, s0
	v_cmp_ne_u32_e64 s0, 0, v2
	v_cvt_f32_f16_e32 v7, v9
	v_lshrrev_b32_e32 v9, 8, v3
	v_mul_f16_e32 v20, v66, v16
	v_and_b32_e32 v15, 7, v13
	s_wait_alu 0xf1ff
	v_cndmask_b32_e64 v2, 0, 1, s0
	v_cvt_f64_f32_e32 v[7:8], v7
	v_fmac_f16_e32 v20, v64, v10
	v_cmp_lt_i32_e64 s0, 5, v15
	v_cmp_eq_u32_e64 s1, 3, v15
	v_and_or_b32 v2, 0xffe, v9, v2
	v_sub_nc_u32_e32 v9, 0x3f1, v14
	v_lshl_or_b32 v15, v4, 16, v18
	v_lshrrev_b32_e32 v4, 2, v13
	s_or_b32 s0, s1, s0
	v_or_b32_e32 v19, 0x1000, v2
	v_med3_i32 v9, v9, 0, 13
	v_cvt_f32_f16_e32 v18, v20
	s_wait_alu 0xfffe
	v_add_co_ci_u32_e64 v4, s0, 0, v4, s0
	v_cmp_ne_u32_e64 s0, 0, v0
	v_lshrrev_b32_e32 v13, v9, v19
	v_mul_f16_e32 v10, v66, v10
	s_wait_alu 0xf1ff
	s_delay_alu instid0(VALU_DEP_3)
	v_cndmask_b32_e64 v0, 0, 1, s0
	v_cmp_gt_i32_e64 s0, 31, v21
	v_lshlrev_b32_e32 v9, v9, v13
	v_fma_f16 v10, v64, v16, -v10
	v_and_or_b32 v22, 0x1ff, v6, v5
	v_lshl_or_b32 v0, v0, 9, 0x7c00
	s_wait_alu 0xf1ff
	v_cndmask_b32_e64 v20, 0x7c00, v4, s0
	v_cvt_f64_f32_e32 v[4:5], v18
	v_cmp_ne_u32_e64 s0, v9, v19
	v_add_nc_u32_e32 v18, 0xfffffc10, v14
	v_lshrrev_b32_e32 v19, 8, v6
	v_cvt_f32_f16_e32 v10, v10
	s_wait_alu 0xf1ff
	v_cndmask_b32_e64 v9, 0, 1, s0
	v_cmp_ne_u32_e64 s0, 0, v22
	v_bfe_u32 v22, v6, 20, 11
	v_lshrrev_b32_e32 v6, 16, v6
	s_delay_alu instid0(VALU_DEP_4)
	v_or_b32_e32 v9, v13, v9
	s_wait_alu 0xf1ff
	v_cndmask_b32_e64 v14, 0, 1, s0
	v_lshl_or_b32 v13, v18, 12, v2
	v_cmp_gt_i32_e64 s0, 1, v18
	v_mul_f64_e32 v[7:8], s[6:7], v[7:8]
	s_delay_alu instid0(VALU_DEP_4)
	v_and_or_b32 v16, 0xffe, v19, v14
	v_sub_nc_u32_e32 v14, 0x3f1, v22
	s_wait_alu 0xf1ff
	v_cndmask_b32_e64 v19, v13, v9, s0
	v_cmp_eq_u32_e64 s0, 0x40f, v21
	v_cvt_f64_f32_e32 v[9:10], v10
	v_or_b32_e32 v23, 0x1000, v16
	v_med3_i32 v24, v14, 0, 13
	v_add_nc_u32_e32 v22, 0xfffffc10, v22
	s_wait_alu 0xf1ff
	v_cndmask_b32_e64 v0, v20, v0, s0
	v_and_b32_e32 v20, 7, v19
	v_add_co_u32 v13, s0, v11, s8
	v_lshrrev_b32_e32 v21, v24, v23
	s_wait_alu 0xf1ff
	v_add_co_ci_u32_e64 v14, s0, s9, v12, s0
	v_cmp_lt_i32_e64 s0, 5, v20
	v_cmp_eq_u32_e64 s1, 3, v20
	v_lshrrev_b32_e32 v19, 2, v19
	v_lshlrev_b32_e32 v24, v24, v21
	v_and_or_b32 v25, 0x8000, v1, v0
	s_delay_alu instid0(VALU_DEP_4)
	s_or_b32 s0, s1, s0
	v_mul_f64_e32 v[0:1], s[6:7], v[4:5]
	s_wait_alu 0xfffe
	v_add_co_ci_u32_e64 v4, s0, 0, v19, s0
	v_cmp_ne_u32_e64 s2, v24, v23
	v_cmp_ne_u32_e64 s0, 0, v2
	v_lshl_or_b32 v19, v22, 12, v16
	s_wait_alu 0xf1ff
	s_delay_alu instid0(VALU_DEP_3) | instskip(NEXT) | instid1(VALU_DEP_3)
	v_cndmask_b32_e64 v20, 0, 1, s2
	v_cndmask_b32_e64 v2, 0, 1, s0
	v_cmp_gt_i32_e64 s0, 31, v18
	s_delay_alu instid0(VALU_DEP_3) | instskip(NEXT) | instid1(VALU_DEP_3)
	v_or_b32_e32 v5, v21, v20
	v_lshl_or_b32 v2, v2, 9, 0x7c00
	s_wait_alu 0xf1ff
	s_delay_alu instid0(VALU_DEP_3) | instskip(SKIP_4) | instid1(VALU_DEP_3)
	v_cndmask_b32_e64 v4, 0x7c00, v4, s0
	v_cmp_gt_i32_e64 s0, 1, v22
	v_and_or_b32 v7, 0x1ff, v8, v7
	v_lshrrev_b32_e32 v20, 8, v8
	s_wait_alu 0xf1ff
	v_cndmask_b32_e64 v5, v19, v5, s0
	v_cmp_eq_u32_e64 s0, 0x40f, v18
	v_lshrrev_b32_e32 v18, 16, v3
	s_delay_alu instid0(VALU_DEP_3) | instskip(SKIP_1) | instid1(VALU_DEP_3)
	v_and_b32_e32 v19, 7, v5
	s_wait_alu 0xf1ff
	v_cndmask_b32_e64 v4, v4, v2, s0
	v_cmp_ne_u32_e64 s0, 0, v7
	v_mul_f64_e32 v[2:3], s[6:7], v[9:10]
	v_and_b32_e32 v10, 0xffff, v25
	v_bfe_u32 v9, v8, 20, 11
	v_and_or_b32 v4, 0x8000, v18, v4
	s_wait_alu 0xf1ff
	v_cndmask_b32_e64 v7, 0, 1, s0
	v_cmp_lt_i32_e64 s0, 5, v19
	v_cmp_eq_u32_e64 s1, 3, v19
	v_sub_nc_u32_e32 v18, 0x3f1, v9
	v_lshl_or_b32 v10, v4, 16, v10
	v_lshrrev_b32_e32 v4, 2, v5
	v_and_or_b32 v7, 0xffe, v20, v7
	s_or_b32 s0, s1, s0
	v_med3_i32 v18, v18, 0, 13
	v_and_or_b32 v0, 0x1ff, v1, v0
	s_wait_alu 0xfffe
	v_add_co_ci_u32_e64 v4, s0, 0, v4, s0
	v_or_b32_e32 v5, 0x1000, v7
	v_cmp_ne_u32_e64 s0, 0, v16
	v_lshrrev_b32_e32 v20, 8, v1
	v_bfe_u32 v21, v1, 20, 11
	v_add_nc_u32_e32 v9, 0xfffffc10, v9
	v_lshrrev_b32_e32 v19, v18, v5
	s_wait_alu 0xf1ff
	v_cndmask_b32_e64 v16, 0, 1, s0
	v_cmp_gt_i32_e64 s0, 31, v22
	v_lshrrev_b32_e32 v8, 16, v8
	v_lshrrev_b32_e32 v1, 16, v1
	v_lshlrev_b32_e32 v18, v18, v19
	v_lshl_or_b32 v16, v16, 9, 0x7c00
	s_wait_alu 0xf1ff
	v_cndmask_b32_e64 v4, 0x7c00, v4, s0
	v_cmp_ne_u32_e64 s0, 0, v0
	s_wait_alu 0xf1ff
	s_delay_alu instid0(VALU_DEP_1) | instskip(SKIP_3) | instid1(VALU_DEP_4)
	v_cndmask_b32_e64 v0, 0, 1, s0
	v_cmp_ne_u32_e64 s0, v18, v5
	v_sub_nc_u32_e32 v18, 0x3f1, v21
	v_and_or_b32 v2, 0x1ff, v3, v2
	v_and_or_b32 v0, 0xffe, v20, v0
	s_wait_alu 0xf1ff
	v_cndmask_b32_e64 v5, 0, 1, s0
	v_cmp_eq_u32_e64 s0, 0x40f, v22
	v_med3_i32 v18, v18, 0, 13
	v_lshrrev_b32_e32 v20, 8, v3
	v_bfe_u32 v22, v3, 20, 11
	v_or_b32_e32 v5, v19, v5
	s_wait_alu 0xf1ff
	v_cndmask_b32_e64 v4, v4, v16, s0
	v_lshl_or_b32 v16, v9, 12, v7
	v_or_b32_e32 v19, 0x1000, v0
	v_cmp_gt_i32_e64 s0, 1, v9
	s_delay_alu instid0(VALU_DEP_4) | instskip(SKIP_2) | instid1(VALU_DEP_3)
	v_and_or_b32 v4, 0x8000, v6, v4
	v_sub_nc_u32_e32 v6, 0x3f1, v22
	s_wait_alu 0xf1ff
	v_cndmask_b32_e64 v5, v16, v5, s0
	v_lshrrev_b32_e32 v16, v18, v19
	v_cmp_ne_u32_e64 s0, 0, v2
	v_med3_i32 v6, v6, 0, 13
	v_and_b32_e32 v4, 0xffff, v4
	v_and_b32_e32 v23, 7, v5
	v_lshlrev_b32_e32 v18, v18, v16
	s_wait_alu 0xf1ff
	v_cndmask_b32_e64 v2, 0, 1, s0
	v_lshrrev_b32_e32 v5, 2, v5
	v_cmp_lt_i32_e64 s0, 5, v23
	v_cmp_ne_u32_e64 s1, v18, v19
	s_delay_alu instid0(VALU_DEP_4) | instskip(SKIP_2) | instid1(VALU_DEP_3)
	v_and_or_b32 v2, 0xffe, v20, v2
	v_add_nc_u32_e32 v20, 0xfffffc10, v21
	s_wait_alu 0xf1ff
	v_cndmask_b32_e64 v18, 0, 1, s1
	v_cmp_eq_u32_e64 s1, 3, v23
	v_or_b32_e32 v19, 0x1000, v2
	v_lshl_or_b32 v21, v20, 12, v0
	s_delay_alu instid0(VALU_DEP_4) | instskip(NEXT) | instid1(VALU_DEP_4)
	v_or_b32_e32 v16, v16, v18
	s_or_b32 s0, s1, s0
	s_delay_alu instid0(VALU_DEP_3) | instskip(SKIP_3) | instid1(VALU_DEP_3)
	v_lshrrev_b32_e32 v18, v6, v19
	s_wait_alu 0xfffe
	v_add_co_ci_u32_e64 v5, s0, 0, v5, s0
	v_cmp_gt_i32_e64 s0, 1, v20
	v_lshlrev_b32_e32 v6, v6, v18
	s_wait_alu 0xf1ff
	s_delay_alu instid0(VALU_DEP_2) | instskip(SKIP_1) | instid1(VALU_DEP_2)
	v_cndmask_b32_e64 v16, v21, v16, s0
	v_cmp_ne_u32_e64 s0, 0, v7
	v_and_b32_e32 v21, 7, v16
	s_wait_alu 0xf1ff
	s_delay_alu instid0(VALU_DEP_2) | instskip(SKIP_3) | instid1(VALU_DEP_4)
	v_cndmask_b32_e64 v7, 0, 1, s0
	v_cmp_ne_u32_e64 s0, v6, v19
	v_add_nc_u32_e32 v19, 0xfffffc10, v22
	v_cmp_eq_u32_e64 s1, 3, v21
	v_lshl_or_b32 v7, v7, 9, 0x7c00
	s_wait_alu 0xf1ff
	v_cndmask_b32_e64 v6, 0, 1, s0
	v_cmp_gt_i32_e64 s0, 31, v9
	v_cmp_gt_i32_e64 s2, 1, v19
	s_delay_alu instid0(VALU_DEP_3) | instskip(SKIP_4) | instid1(VALU_DEP_3)
	v_or_b32_e32 v6, v18, v6
	v_lshl_or_b32 v18, v19, 12, v2
	s_wait_alu 0xf1ff
	v_cndmask_b32_e64 v5, 0x7c00, v5, s0
	v_cmp_lt_i32_e64 s0, 5, v21
	v_cndmask_b32_e64 v6, v18, v6, s2
	v_cmp_eq_u32_e64 s2, 0x40f, v9
	s_delay_alu instid0(VALU_DEP_3) | instskip(NEXT) | instid1(VALU_DEP_2)
	s_or_b32 s0, s1, s0
	v_and_b32_e32 v9, 7, v6
	s_delay_alu instid0(VALU_DEP_2)
	v_cndmask_b32_e64 v5, v5, v7, s2
	v_lshrrev_b32_e32 v7, 2, v16
	v_lshrrev_b32_e32 v6, 2, v6
	v_cmp_gt_i32_e64 s2, 31, v20
	v_cmp_eq_u32_e64 s1, 3, v9
	v_and_or_b32 v5, 0x8000, v8, v5
	s_wait_alu 0xfffe
	v_add_co_ci_u32_e64 v7, s0, 0, v7, s0
	v_cmp_ne_u32_e64 s0, 0, v0
	s_wait_alu 0xf1ff
	s_delay_alu instid0(VALU_DEP_2) | instskip(NEXT) | instid1(VALU_DEP_2)
	v_cndmask_b32_e64 v7, 0x7c00, v7, s2
	v_cndmask_b32_e64 v0, 0, 1, s0
	v_cmp_lt_i32_e64 s0, 5, v9
	s_delay_alu instid0(VALU_DEP_2) | instskip(NEXT) | instid1(VALU_DEP_2)
	v_lshl_or_b32 v0, v0, 9, 0x7c00
	s_or_b32 s0, s1, s0
	s_wait_alu 0xfffe
	v_add_co_ci_u32_e64 v6, s0, 0, v6, s0
	v_cmp_ne_u32_e64 s0, 0, v2
	s_wait_alu 0xf1ff
	s_delay_alu instid0(VALU_DEP_1) | instskip(SKIP_1) | instid1(VALU_DEP_2)
	v_cndmask_b32_e64 v2, 0, 1, s0
	v_cmp_eq_u32_e64 s0, 0x40f, v20
	v_lshl_or_b32 v2, v2, 9, 0x7c00
	s_wait_alu 0xf1ff
	s_delay_alu instid0(VALU_DEP_2) | instskip(SKIP_2) | instid1(VALU_DEP_3)
	v_cndmask_b32_e64 v0, v7, v0, s0
	v_cmp_gt_i32_e64 s0, 31, v19
	v_lshl_or_b32 v7, v5, 16, v4
	v_and_or_b32 v0, 0x8000, v1, v0
	s_wait_alu 0xf1ff
	s_delay_alu instid0(VALU_DEP_3) | instskip(SKIP_1) | instid1(VALU_DEP_3)
	v_cndmask_b32_e64 v6, 0x7c00, v6, s0
	v_cmp_eq_u32_e64 s0, 0x40f, v19
	v_and_b32_e32 v0, 0xffff, v0
	s_wait_alu 0xf1ff
	s_delay_alu instid0(VALU_DEP_2) | instskip(SKIP_4) | instid1(VALU_DEP_3)
	v_cndmask_b32_e64 v1, v6, v2, s0
	v_lshrrev_b32_e32 v6, 16, v3
	v_add_co_u32 v2, s0, v13, s4
	s_wait_alu 0xf1ff
	v_add_co_ci_u32_e64 v3, s0, s5, v14, s0
	v_and_or_b32 v1, 0x8000, v6, v1
	s_delay_alu instid0(VALU_DEP_3) | instskip(SKIP_1) | instid1(VALU_DEP_3)
	v_add_co_u32 v4, s0, v2, s8
	s_wait_alu 0xf1ff
	v_add_co_ci_u32_e64 v5, s0, s9, v3, s0
	s_delay_alu instid0(VALU_DEP_3) | instskip(NEXT) | instid1(VALU_DEP_3)
	v_lshl_or_b32 v6, v1, 16, v0
	v_add_co_u32 v0, s0, v4, s4
	s_wait_alu 0xf1ff
	s_delay_alu instid0(VALU_DEP_3)
	v_add_co_ci_u32_e64 v1, s0, s5, v5, s0
	global_store_b32 v[11:12], v17, off
	global_store_b32 v[13:14], v15, off
	;; [unrolled: 1-line block ×5, first 2 shown]
	s_and_b32 exec_lo, exec_lo, vcc_lo
	s_cbranch_execz .LBB0_31
; %bb.30:
	global_load_b32 v2, v[28:29], off offset:1760
	ds_load_b32 v3, v63 offset:1760
	ds_load_b32 v6, v63 offset:3608
	s_wait_dscnt 0x1
	v_lshrrev_b32_e32 v4, 16, v3
	s_wait_loadcnt 0x0
	v_lshrrev_b32_e32 v5, 16, v2
	s_delay_alu instid0(VALU_DEP_1) | instskip(SKIP_1) | instid1(VALU_DEP_2)
	v_mul_f16_e32 v7, v4, v5
	v_mul_f16_e32 v5, v3, v5
	v_fmac_f16_e32 v7, v3, v2
	s_delay_alu instid0(VALU_DEP_2) | instskip(NEXT) | instid1(VALU_DEP_2)
	v_fma_f16 v2, v2, v4, -v5
	v_cvt_f32_f16_e32 v3, v7
	s_delay_alu instid0(VALU_DEP_2) | instskip(NEXT) | instid1(VALU_DEP_2)
	v_cvt_f32_f16_e32 v4, v2
	v_cvt_f64_f32_e32 v[2:3], v3
	s_delay_alu instid0(VALU_DEP_2) | instskip(NEXT) | instid1(VALU_DEP_2)
	v_cvt_f64_f32_e32 v[4:5], v4
	v_mul_f64_e32 v[2:3], s[6:7], v[2:3]
	s_delay_alu instid0(VALU_DEP_2) | instskip(NEXT) | instid1(VALU_DEP_2)
	v_mul_f64_e32 v[4:5], s[6:7], v[4:5]
	v_and_or_b32 v2, 0x1ff, v3, v2
	s_delay_alu instid0(VALU_DEP_2)
	v_and_or_b32 v4, 0x1ff, v5, v4
	v_lshrrev_b32_e32 v7, 8, v3
	v_bfe_u32 v8, v3, 20, 11
	v_lshrrev_b32_e32 v9, 8, v5
	v_cmp_ne_u32_e32 vcc_lo, 0, v2
	v_bfe_u32 v10, v5, 20, 11
	v_lshrrev_b32_e32 v3, 16, v3
	v_sub_nc_u32_e32 v11, 0x3f1, v8
	v_lshrrev_b32_e32 v5, 16, v5
	s_wait_alu 0xfffd
	v_cndmask_b32_e64 v2, 0, 1, vcc_lo
	v_cmp_ne_u32_e32 vcc_lo, 0, v4
	s_delay_alu instid0(VALU_DEP_2) | instskip(SKIP_3) | instid1(VALU_DEP_2)
	v_and_or_b32 v2, 0xffe, v7, v2
	s_wait_alu 0xfffd
	v_cndmask_b32_e64 v4, 0, 1, vcc_lo
	v_sub_nc_u32_e32 v7, 0x3f1, v10
	v_and_or_b32 v4, 0xffe, v9, v4
	v_med3_i32 v9, v11, 0, 13
	v_or_b32_e32 v11, 0x1000, v2
	s_delay_alu instid0(VALU_DEP_4) | instskip(NEXT) | instid1(VALU_DEP_4)
	v_med3_i32 v7, v7, 0, 13
	v_or_b32_e32 v12, 0x1000, v4
	s_delay_alu instid0(VALU_DEP_3) | instskip(NEXT) | instid1(VALU_DEP_2)
	v_lshrrev_b32_e32 v13, v9, v11
	v_lshrrev_b32_e32 v14, v7, v12
	s_delay_alu instid0(VALU_DEP_2) | instskip(NEXT) | instid1(VALU_DEP_2)
	v_lshlrev_b32_e32 v9, v9, v13
	v_lshlrev_b32_e32 v7, v7, v14
	s_delay_alu instid0(VALU_DEP_2) | instskip(SKIP_2) | instid1(VALU_DEP_3)
	v_cmp_ne_u32_e32 vcc_lo, v9, v11
	s_wait_alu 0xfffd
	v_cndmask_b32_e64 v9, 0, 1, vcc_lo
	v_cmp_ne_u32_e32 vcc_lo, v7, v12
	s_delay_alu instid0(VALU_DEP_2) | instskip(SKIP_3) | instid1(VALU_DEP_2)
	v_or_b32_e32 v9, v13, v9
	v_add_nc_u32_e32 v8, 0xfffffc10, v8
	s_wait_alu 0xfffd
	v_cndmask_b32_e64 v7, 0, 1, vcc_lo
	v_lshl_or_b32 v11, v8, 12, v2
	s_delay_alu instid0(VALU_DEP_2) | instskip(SKIP_2) | instid1(VALU_DEP_2)
	v_or_b32_e32 v7, v14, v7
	v_add_nc_u32_e32 v10, 0xfffffc10, v10
	v_cmp_gt_i32_e32 vcc_lo, 1, v8
	v_lshl_or_b32 v12, v10, 12, v4
	s_wait_alu 0xfffd
	v_cndmask_b32_e32 v9, v11, v9, vcc_lo
	v_cmp_gt_i32_e32 vcc_lo, 1, v10
	s_wait_alu 0xfffd
	v_cndmask_b32_e32 v7, v12, v7, vcc_lo
	v_cmp_ne_u32_e32 vcc_lo, 0, v2
	s_wait_alu 0xfffd
	v_cndmask_b32_e64 v2, 0, 1, vcc_lo
	v_cmp_ne_u32_e32 vcc_lo, 0, v4
	s_delay_alu instid0(VALU_DEP_2) | instskip(SKIP_4) | instid1(VALU_DEP_3)
	v_lshl_or_b32 v2, v2, 9, 0x7c00
	v_and_b32_e32 v11, 7, v9
	s_wait_alu 0xfffd
	v_cndmask_b32_e64 v4, 0, 1, vcc_lo
	v_lshrrev_b32_e32 v9, 2, v9
	v_cmp_lt_i32_e32 vcc_lo, 5, v11
	v_cmp_eq_u32_e64 s0, 3, v11
	s_delay_alu instid0(VALU_DEP_4) | instskip(NEXT) | instid1(VALU_DEP_2)
	v_lshl_or_b32 v4, v4, 9, 0x7c00
	s_or_b32 vcc_lo, s0, vcc_lo
	s_wait_alu 0xfffe
	v_add_co_ci_u32_e32 v9, vcc_lo, 0, v9, vcc_lo
	v_and_b32_e32 v12, 7, v7
	v_lshrrev_b32_e32 v7, 2, v7
	s_delay_alu instid0(VALU_DEP_2) | instskip(SKIP_1) | instid1(VALU_DEP_1)
	v_cmp_lt_i32_e64 s1, 5, v12
	v_cmp_eq_u32_e64 s2, 3, v12
	s_or_b32 vcc_lo, s2, s1
	s_wait_alu 0xfffe
	v_add_co_ci_u32_e32 v7, vcc_lo, 0, v7, vcc_lo
	v_cmp_gt_i32_e32 vcc_lo, 31, v8
	s_wait_alu 0xfffd
	v_cndmask_b32_e32 v9, 0x7c00, v9, vcc_lo
	v_cmp_gt_i32_e32 vcc_lo, 31, v10
	s_wait_alu 0xfffd
	v_cndmask_b32_e32 v7, 0x7c00, v7, vcc_lo
	v_cmp_eq_u32_e32 vcc_lo, 0x40f, v8
	s_wait_alu 0xfffd
	v_cndmask_b32_e32 v2, v9, v2, vcc_lo
	v_cmp_eq_u32_e32 vcc_lo, 0x40f, v10
	s_delay_alu instid0(VALU_DEP_2)
	v_and_or_b32 v2, 0x8000, v3, v2
	s_wait_alu 0xfffd
	v_cndmask_b32_e32 v4, v7, v4, vcc_lo
	v_add_co_u32 v0, vcc_lo, v0, s8
	s_wait_alu 0xfffd
	v_add_co_ci_u32_e32 v1, vcc_lo, s9, v1, vcc_lo
	s_delay_alu instid0(VALU_DEP_3) | instskip(SKIP_1) | instid1(VALU_DEP_1)
	v_and_or_b32 v3, 0x8000, v5, v4
	v_and_b32_e32 v2, 0xffff, v2
	v_lshl_or_b32 v2, v3, 16, v2
	s_wait_dscnt 0x0
	v_lshrrev_b32_e32 v3, 16, v6
	global_store_b32 v[0:1], v2, off
	global_load_b32 v2, v[28:29], off offset:3608
	s_wait_loadcnt 0x0
	v_lshrrev_b32_e32 v4, 16, v2
	s_delay_alu instid0(VALU_DEP_1) | instskip(SKIP_1) | instid1(VALU_DEP_2)
	v_mul_f16_e32 v5, v3, v4
	v_mul_f16_e32 v4, v6, v4
	v_fmac_f16_e32 v5, v6, v2
	s_delay_alu instid0(VALU_DEP_2) | instskip(NEXT) | instid1(VALU_DEP_2)
	v_fma_f16 v2, v2, v3, -v4
	v_cvt_f32_f16_e32 v3, v5
	s_delay_alu instid0(VALU_DEP_2) | instskip(NEXT) | instid1(VALU_DEP_2)
	v_cvt_f32_f16_e32 v4, v2
	v_cvt_f64_f32_e32 v[2:3], v3
	s_delay_alu instid0(VALU_DEP_2) | instskip(NEXT) | instid1(VALU_DEP_2)
	v_cvt_f64_f32_e32 v[4:5], v4
	v_mul_f64_e32 v[2:3], s[6:7], v[2:3]
	s_delay_alu instid0(VALU_DEP_2) | instskip(NEXT) | instid1(VALU_DEP_2)
	v_mul_f64_e32 v[4:5], s[6:7], v[4:5]
	v_and_or_b32 v2, 0x1ff, v3, v2
	s_delay_alu instid0(VALU_DEP_2)
	v_and_or_b32 v4, 0x1ff, v5, v4
	v_lshrrev_b32_e32 v6, 8, v3
	v_bfe_u32 v7, v3, 20, 11
	v_lshrrev_b32_e32 v8, 8, v5
	v_cmp_ne_u32_e32 vcc_lo, 0, v2
	v_bfe_u32 v9, v5, 20, 11
	v_lshrrev_b32_e32 v3, 16, v3
	v_sub_nc_u32_e32 v10, 0x3f1, v7
	v_lshrrev_b32_e32 v5, 16, v5
	s_wait_alu 0xfffd
	v_cndmask_b32_e64 v2, 0, 1, vcc_lo
	v_cmp_ne_u32_e32 vcc_lo, 0, v4
	s_delay_alu instid0(VALU_DEP_2) | instskip(SKIP_4) | instid1(VALU_DEP_3)
	v_and_or_b32 v2, 0xffe, v6, v2
	s_wait_alu 0xfffd
	v_cndmask_b32_e64 v4, 0, 1, vcc_lo
	v_sub_nc_u32_e32 v6, 0x3f1, v9
	v_add_nc_u32_e32 v9, 0xfffffc10, v9
	v_and_or_b32 v4, 0xffe, v8, v4
	v_med3_i32 v8, v10, 0, 13
	v_or_b32_e32 v10, 0x1000, v2
	v_med3_i32 v6, v6, 0, 13
	s_delay_alu instid0(VALU_DEP_4) | instskip(NEXT) | instid1(VALU_DEP_3)
	v_or_b32_e32 v11, 0x1000, v4
	v_lshrrev_b32_e32 v12, v8, v10
	s_delay_alu instid0(VALU_DEP_2) | instskip(NEXT) | instid1(VALU_DEP_2)
	v_lshrrev_b32_e32 v13, v6, v11
	v_lshlrev_b32_e32 v8, v8, v12
	s_delay_alu instid0(VALU_DEP_2) | instskip(NEXT) | instid1(VALU_DEP_2)
	v_lshlrev_b32_e32 v6, v6, v13
	v_cmp_ne_u32_e32 vcc_lo, v8, v10
	s_wait_alu 0xfffd
	v_cndmask_b32_e64 v8, 0, 1, vcc_lo
	s_delay_alu instid0(VALU_DEP_3) | instskip(SKIP_1) | instid1(VALU_DEP_3)
	v_cmp_ne_u32_e32 vcc_lo, v6, v11
	v_lshl_or_b32 v11, v9, 12, v4
	v_or_b32_e32 v8, v12, v8
	s_wait_alu 0xfffd
	v_cndmask_b32_e64 v6, 0, 1, vcc_lo
	s_delay_alu instid0(VALU_DEP_1) | instskip(SKIP_1) | instid1(VALU_DEP_1)
	v_or_b32_e32 v6, v13, v6
	v_add_nc_u32_e32 v7, 0xfffffc10, v7
	v_lshl_or_b32 v10, v7, 12, v2
	v_cmp_gt_i32_e32 vcc_lo, 1, v7
	s_wait_alu 0xfffd
	s_delay_alu instid0(VALU_DEP_2) | instskip(SKIP_1) | instid1(VALU_DEP_2)
	v_cndmask_b32_e32 v8, v10, v8, vcc_lo
	v_cmp_gt_i32_e32 vcc_lo, 1, v9
	v_and_b32_e32 v10, 7, v8
	s_wait_alu 0xfffd
	v_cndmask_b32_e32 v6, v11, v6, vcc_lo
	v_cmp_ne_u32_e32 vcc_lo, 0, v2
	v_lshrrev_b32_e32 v8, 2, v8
	v_cmp_eq_u32_e64 s0, 3, v10
	s_wait_alu 0xfffd
	v_cndmask_b32_e64 v2, 0, 1, vcc_lo
	v_cmp_ne_u32_e32 vcc_lo, 0, v4
	s_delay_alu instid0(VALU_DEP_2) | instskip(SKIP_3) | instid1(VALU_DEP_2)
	v_lshl_or_b32 v2, v2, 9, 0x7c00
	s_wait_alu 0xfffd
	v_cndmask_b32_e64 v4, 0, 1, vcc_lo
	v_cmp_lt_i32_e32 vcc_lo, 5, v10
	v_lshl_or_b32 v4, v4, 9, 0x7c00
	s_or_b32 vcc_lo, s0, vcc_lo
	s_wait_alu 0xfffe
	v_add_co_ci_u32_e32 v8, vcc_lo, 0, v8, vcc_lo
	v_and_b32_e32 v11, 7, v6
	v_lshrrev_b32_e32 v6, 2, v6
	s_delay_alu instid0(VALU_DEP_2) | instskip(SKIP_1) | instid1(VALU_DEP_1)
	v_cmp_lt_i32_e64 s1, 5, v11
	v_cmp_eq_u32_e64 s2, 3, v11
	s_or_b32 vcc_lo, s2, s1
	s_wait_alu 0xfffe
	v_add_co_ci_u32_e32 v6, vcc_lo, 0, v6, vcc_lo
	v_cmp_gt_i32_e32 vcc_lo, 31, v7
	s_wait_alu 0xfffd
	v_cndmask_b32_e32 v8, 0x7c00, v8, vcc_lo
	v_cmp_gt_i32_e32 vcc_lo, 31, v9
	s_wait_alu 0xfffd
	v_cndmask_b32_e32 v6, 0x7c00, v6, vcc_lo
	v_cmp_eq_u32_e32 vcc_lo, 0x40f, v7
	s_wait_alu 0xfffd
	v_cndmask_b32_e32 v2, v8, v2, vcc_lo
	v_cmp_eq_u32_e32 vcc_lo, 0x40f, v9
	s_delay_alu instid0(VALU_DEP_2)
	v_and_or_b32 v2, 0x8000, v3, v2
	s_wait_alu 0xfffd
	v_cndmask_b32_e32 v4, v6, v4, vcc_lo
	v_add_co_u32 v0, vcc_lo, v0, s4
	s_wait_alu 0xfffd
	v_add_co_ci_u32_e32 v1, vcc_lo, s5, v1, vcc_lo
	s_delay_alu instid0(VALU_DEP_3) | instskip(SKIP_1) | instid1(VALU_DEP_1)
	v_and_or_b32 v3, 0x8000, v5, v4
	v_and_b32_e32 v2, 0xffff, v2
	v_lshl_or_b32 v2, v3, 16, v2
	global_store_b32 v[0:1], v2, off
.LBB0_31:
	s_nop 0
	s_sendmsg sendmsg(MSG_DEALLOC_VGPRS)
	s_endpgm
	.section	.rodata,"a",@progbits
	.p2align	6, 0x0
	.amdhsa_kernel bluestein_single_back_len924_dim1_half_op_CI_CI
		.amdhsa_group_segment_fixed_size 3696
		.amdhsa_private_segment_fixed_size 0
		.amdhsa_kernarg_size 104
		.amdhsa_user_sgpr_count 2
		.amdhsa_user_sgpr_dispatch_ptr 0
		.amdhsa_user_sgpr_queue_ptr 0
		.amdhsa_user_sgpr_kernarg_segment_ptr 1
		.amdhsa_user_sgpr_dispatch_id 0
		.amdhsa_user_sgpr_private_segment_size 0
		.amdhsa_wavefront_size32 1
		.amdhsa_uses_dynamic_stack 0
		.amdhsa_enable_private_segment 0
		.amdhsa_system_sgpr_workgroup_id_x 1
		.amdhsa_system_sgpr_workgroup_id_y 0
		.amdhsa_system_sgpr_workgroup_id_z 0
		.amdhsa_system_sgpr_workgroup_info 0
		.amdhsa_system_vgpr_workitem_id 0
		.amdhsa_next_free_vgpr 256
		.amdhsa_next_free_sgpr 18
		.amdhsa_reserve_vcc 1
		.amdhsa_float_round_mode_32 0
		.amdhsa_float_round_mode_16_64 0
		.amdhsa_float_denorm_mode_32 3
		.amdhsa_float_denorm_mode_16_64 3
		.amdhsa_fp16_overflow 0
		.amdhsa_workgroup_processor_mode 1
		.amdhsa_memory_ordered 1
		.amdhsa_forward_progress 0
		.amdhsa_round_robin_scheduling 0
		.amdhsa_exception_fp_ieee_invalid_op 0
		.amdhsa_exception_fp_denorm_src 0
		.amdhsa_exception_fp_ieee_div_zero 0
		.amdhsa_exception_fp_ieee_overflow 0
		.amdhsa_exception_fp_ieee_underflow 0
		.amdhsa_exception_fp_ieee_inexact 0
		.amdhsa_exception_int_div_zero 0
	.end_amdhsa_kernel
	.text
.Lfunc_end0:
	.size	bluestein_single_back_len924_dim1_half_op_CI_CI, .Lfunc_end0-bluestein_single_back_len924_dim1_half_op_CI_CI
                                        ; -- End function
	.section	.AMDGPU.csdata,"",@progbits
; Kernel info:
; codeLenInByte = 45876
; NumSgprs: 20
; NumVgprs: 256
; ScratchSize: 0
; MemoryBound: 0
; FloatMode: 240
; IeeeMode: 1
; LDSByteSize: 3696 bytes/workgroup (compile time only)
; SGPRBlocks: 2
; VGPRBlocks: 31
; NumSGPRsForWavesPerEU: 20
; NumVGPRsForWavesPerEU: 256
; Occupancy: 5
; WaveLimiterHint : 1
; COMPUTE_PGM_RSRC2:SCRATCH_EN: 0
; COMPUTE_PGM_RSRC2:USER_SGPR: 2
; COMPUTE_PGM_RSRC2:TRAP_HANDLER: 0
; COMPUTE_PGM_RSRC2:TGID_X_EN: 1
; COMPUTE_PGM_RSRC2:TGID_Y_EN: 0
; COMPUTE_PGM_RSRC2:TGID_Z_EN: 0
; COMPUTE_PGM_RSRC2:TIDIG_COMP_CNT: 0
	.text
	.p2alignl 7, 3214868480
	.fill 96, 4, 3214868480
	.type	__hip_cuid_626a8dc31c696a58,@object ; @__hip_cuid_626a8dc31c696a58
	.section	.bss,"aw",@nobits
	.globl	__hip_cuid_626a8dc31c696a58
__hip_cuid_626a8dc31c696a58:
	.byte	0                               ; 0x0
	.size	__hip_cuid_626a8dc31c696a58, 1

	.ident	"AMD clang version 19.0.0git (https://github.com/RadeonOpenCompute/llvm-project roc-6.4.0 25133 c7fe45cf4b819c5991fe208aaa96edf142730f1d)"
	.section	".note.GNU-stack","",@progbits
	.addrsig
	.addrsig_sym __hip_cuid_626a8dc31c696a58
	.amdgpu_metadata
---
amdhsa.kernels:
  - .args:
      - .actual_access:  read_only
        .address_space:  global
        .offset:         0
        .size:           8
        .value_kind:     global_buffer
      - .actual_access:  read_only
        .address_space:  global
        .offset:         8
        .size:           8
        .value_kind:     global_buffer
      - .actual_access:  read_only
        .address_space:  global
        .offset:         16
        .size:           8
        .value_kind:     global_buffer
      - .actual_access:  read_only
        .address_space:  global
        .offset:         24
        .size:           8
        .value_kind:     global_buffer
      - .actual_access:  read_only
        .address_space:  global
        .offset:         32
        .size:           8
        .value_kind:     global_buffer
      - .offset:         40
        .size:           8
        .value_kind:     by_value
      - .address_space:  global
        .offset:         48
        .size:           8
        .value_kind:     global_buffer
      - .address_space:  global
        .offset:         56
        .size:           8
        .value_kind:     global_buffer
      - .address_space:  global
        .offset:         64
        .size:           8
        .value_kind:     global_buffer
      - .address_space:  global
        .offset:         72
        .size:           8
        .value_kind:     global_buffer
      - .offset:         80
        .size:           4
        .value_kind:     by_value
      - .address_space:  global
        .offset:         88
        .size:           8
        .value_kind:     global_buffer
      - .address_space:  global
        .offset:         96
        .size:           8
        .value_kind:     global_buffer
    .group_segment_fixed_size: 3696
    .kernarg_segment_align: 8
    .kernarg_segment_size: 104
    .language:       OpenCL C
    .language_version:
      - 2
      - 0
    .max_flat_workgroup_size: 44
    .name:           bluestein_single_back_len924_dim1_half_op_CI_CI
    .private_segment_fixed_size: 0
    .sgpr_count:     20
    .sgpr_spill_count: 0
    .symbol:         bluestein_single_back_len924_dim1_half_op_CI_CI.kd
    .uniform_work_group_size: 1
    .uses_dynamic_stack: false
    .vgpr_count:     256
    .vgpr_spill_count: 0
    .wavefront_size: 32
    .workgroup_processor_mode: 1
amdhsa.target:   amdgcn-amd-amdhsa--gfx1201
amdhsa.version:
  - 1
  - 2
...

	.end_amdgpu_metadata
